;; amdgpu-corpus repo=ROCm/rocBLAS kind=compiled arch=gfx1250 opt=O3
	.amdgcn_target "amdgcn-amd-amdhsa--gfx1250"
	.amdhsa_code_object_version 6
	.section	.text._ZL19rocblas_copy_kernelIiLi256EPKfPfEviT1_lT_lT2_lS4_li,"axG",@progbits,_ZL19rocblas_copy_kernelIiLi256EPKfPfEviT1_lT_lT2_lS4_li,comdat
	.globl	_ZL19rocblas_copy_kernelIiLi256EPKfPfEviT1_lT_lT2_lS4_li ; -- Begin function _ZL19rocblas_copy_kernelIiLi256EPKfPfEviT1_lT_lT2_lS4_li
	.p2align	8
	.type	_ZL19rocblas_copy_kernelIiLi256EPKfPfEviT1_lT_lT2_lS4_li,@function
_ZL19rocblas_copy_kernelIiLi256EPKfPfEviT1_lT_lT2_lS4_li: ; @_ZL19rocblas_copy_kernelIiLi256EPKfPfEviT1_lT_lT2_lS4_li
; %bb.0:
	s_load_b32 s12, s[0:1], 0x48
	s_bfe_u32 s2, ttmp6, 0x40014
	s_lshr_b32 s3, ttmp7, 16
	s_add_co_i32 s2, s2, 1
	s_bfe_u32 s4, ttmp6, 0x40008
	s_mul_i32 s2, s3, s2
	s_getreg_b32 s8, hwreg(HW_REG_IB_STS2, 6, 4)
	s_add_co_i32 s4, s4, s2
	s_cmp_eq_u32 s8, 0
	s_cselect_b32 s2, s3, s4
	s_mov_b32 s3, 0
	s_wait_kmcnt 0x0
	s_cmp_ge_u32 s2, s12
	s_cbranch_scc1 .LBB0_5
; %bb.1:
	s_clause 0x3
	s_load_b32 s14, s[0:1], 0x0
	s_load_b32 s10, s[0:1], 0x18
	s_load_b96 s[16:18], s[0:1], 0x30
	s_load_b128 s[4:7], s[0:1], 0x8
	s_bfe_u32 s9, ttmp6, 0x4000c
	s_and_b32 s11, ttmp6, 15
	s_add_co_i32 s9, s9, 1
	v_mov_b32_e32 v1, 0
	s_mul_i32 s9, ttmp9, s9
	s_delay_alu instid0(SALU_CYCLE_1)
	s_add_co_i32 s13, s11, s9
	s_wait_kmcnt 0x0
	s_ashr_i32 s15, s14, 31
	s_ashr_i32 s11, s10, 31
	;; [unrolled: 1-line block ×3, first 2 shown]
	s_lshl_b64 s[20:21], s[6:7], 2
	s_lshl_b64 s[16:17], s[16:17], 2
	s_cmp_eq_u32 s8, 0
	s_mov_b32 s8, s18
	s_cselect_b32 s6, ttmp9, s13
	s_delay_alu instid0(SALU_CYCLE_1) | instskip(NEXT) | instid1(VALU_DEP_1)
	v_lshl_or_b32 v0, s6, 8, v0
	v_mul_u64_e32 v[2:3], s[10:11], v[0:1]
	v_mul_u64_e32 v[4:5], s[8:9], v[0:1]
	s_clause 0x1
	s_load_b128 s[8:11], s[0:1], 0x20
	s_load_b64 s[6:7], s[0:1], 0x40
	s_wait_xcnt 0x0
	s_add_nc_u64 s[0:1], s[4:5], s[20:21]
	v_cmp_gt_i64_e32 vcc_lo, s[14:15], v[0:1]
	s_wait_kmcnt 0x0
	s_add_nc_u64 s[4:5], s[10:11], s[16:17]
	s_delay_alu instid0(VALU_DEP_3) | instskip(NEXT) | instid1(VALU_DEP_3)
	v_lshl_add_u64 v[0:1], v[2:3], 2, s[0:1]
	v_lshl_add_u64 v[2:3], v[4:5], 2, s[4:5]
	s_branch .LBB0_3
.LBB0_2:                                ;   in Loop: Header=BB0_3 Depth=1
	s_wait_xcnt 0x0
	s_or_b32 exec_lo, exec_lo, s0
	s_add_co_i32 s2, s2, 0x10000
	s_delay_alu instid0(SALU_CYCLE_1)
	s_cmp_lt_u32 s2, s12
	s_cbranch_scc0 .LBB0_5
.LBB0_3:                                ; =>This Inner Loop Header: Depth=1
	s_and_saveexec_b32 s0, vcc_lo
	s_cbranch_execz .LBB0_2
; %bb.4:                                ;   in Loop: Header=BB0_3 Depth=1
	s_mul_u64 s[4:5], s[8:9], s[2:3]
	s_delay_alu instid0(SALU_CYCLE_1)
	v_lshl_add_u64 v[4:5], s[4:5], 2, v[0:1]
	s_mul_u64 s[4:5], s[6:7], s[2:3]
	global_load_b32 v6, v[4:5], off
	s_wait_xcnt 0x0
	v_lshl_add_u64 v[4:5], s[4:5], 2, v[2:3]
	s_wait_loadcnt 0x0
	global_store_b32 v[4:5], v6, off
	s_branch .LBB0_2
.LBB0_5:
	s_endpgm
	.section	.rodata,"a",@progbits
	.p2align	6, 0x0
	.amdhsa_kernel _ZL19rocblas_copy_kernelIiLi256EPKfPfEviT1_lT_lT2_lS4_li
		.amdhsa_group_segment_fixed_size 0
		.amdhsa_private_segment_fixed_size 0
		.amdhsa_kernarg_size 76
		.amdhsa_user_sgpr_count 2
		.amdhsa_user_sgpr_dispatch_ptr 0
		.amdhsa_user_sgpr_queue_ptr 0
		.amdhsa_user_sgpr_kernarg_segment_ptr 1
		.amdhsa_user_sgpr_dispatch_id 0
		.amdhsa_user_sgpr_kernarg_preload_length 0
		.amdhsa_user_sgpr_kernarg_preload_offset 0
		.amdhsa_user_sgpr_private_segment_size 0
		.amdhsa_wavefront_size32 1
		.amdhsa_uses_dynamic_stack 0
		.amdhsa_enable_private_segment 0
		.amdhsa_system_sgpr_workgroup_id_x 1
		.amdhsa_system_sgpr_workgroup_id_y 0
		.amdhsa_system_sgpr_workgroup_id_z 1
		.amdhsa_system_sgpr_workgroup_info 0
		.amdhsa_system_vgpr_workitem_id 0
		.amdhsa_next_free_vgpr 7
		.amdhsa_next_free_sgpr 22
		.amdhsa_named_barrier_count 0
		.amdhsa_reserve_vcc 1
		.amdhsa_float_round_mode_32 0
		.amdhsa_float_round_mode_16_64 0
		.amdhsa_float_denorm_mode_32 3
		.amdhsa_float_denorm_mode_16_64 3
		.amdhsa_fp16_overflow 0
		.amdhsa_memory_ordered 1
		.amdhsa_forward_progress 1
		.amdhsa_inst_pref_size 3
		.amdhsa_round_robin_scheduling 0
		.amdhsa_exception_fp_ieee_invalid_op 0
		.amdhsa_exception_fp_denorm_src 0
		.amdhsa_exception_fp_ieee_div_zero 0
		.amdhsa_exception_fp_ieee_overflow 0
		.amdhsa_exception_fp_ieee_underflow 0
		.amdhsa_exception_fp_ieee_inexact 0
		.amdhsa_exception_int_div_zero 0
	.end_amdhsa_kernel
	.section	.text._ZL19rocblas_copy_kernelIiLi256EPKfPfEviT1_lT_lT2_lS4_li,"axG",@progbits,_ZL19rocblas_copy_kernelIiLi256EPKfPfEviT1_lT_lT2_lS4_li,comdat
.Lfunc_end0:
	.size	_ZL19rocblas_copy_kernelIiLi256EPKfPfEviT1_lT_lT2_lS4_li, .Lfunc_end0-_ZL19rocblas_copy_kernelIiLi256EPKfPfEviT1_lT_lT2_lS4_li
                                        ; -- End function
	.set _ZL19rocblas_copy_kernelIiLi256EPKfPfEviT1_lT_lT2_lS4_li.num_vgpr, 7
	.set _ZL19rocblas_copy_kernelIiLi256EPKfPfEviT1_lT_lT2_lS4_li.num_agpr, 0
	.set _ZL19rocblas_copy_kernelIiLi256EPKfPfEviT1_lT_lT2_lS4_li.numbered_sgpr, 22
	.set _ZL19rocblas_copy_kernelIiLi256EPKfPfEviT1_lT_lT2_lS4_li.num_named_barrier, 0
	.set _ZL19rocblas_copy_kernelIiLi256EPKfPfEviT1_lT_lT2_lS4_li.private_seg_size, 0
	.set _ZL19rocblas_copy_kernelIiLi256EPKfPfEviT1_lT_lT2_lS4_li.uses_vcc, 1
	.set _ZL19rocblas_copy_kernelIiLi256EPKfPfEviT1_lT_lT2_lS4_li.uses_flat_scratch, 0
	.set _ZL19rocblas_copy_kernelIiLi256EPKfPfEviT1_lT_lT2_lS4_li.has_dyn_sized_stack, 0
	.set _ZL19rocblas_copy_kernelIiLi256EPKfPfEviT1_lT_lT2_lS4_li.has_recursion, 0
	.set _ZL19rocblas_copy_kernelIiLi256EPKfPfEviT1_lT_lT2_lS4_li.has_indirect_call, 0
	.section	.AMDGPU.csdata,"",@progbits
; Kernel info:
; codeLenInByte = 360
; TotalNumSgprs: 24
; NumVgprs: 7
; ScratchSize: 0
; MemoryBound: 0
; FloatMode: 240
; IeeeMode: 1
; LDSByteSize: 0 bytes/workgroup (compile time only)
; SGPRBlocks: 0
; VGPRBlocks: 0
; NumSGPRsForWavesPerEU: 24
; NumVGPRsForWavesPerEU: 7
; NamedBarCnt: 0
; Occupancy: 16
; WaveLimiterHint : 0
; COMPUTE_PGM_RSRC2:SCRATCH_EN: 0
; COMPUTE_PGM_RSRC2:USER_SGPR: 2
; COMPUTE_PGM_RSRC2:TRAP_HANDLER: 0
; COMPUTE_PGM_RSRC2:TGID_X_EN: 1
; COMPUTE_PGM_RSRC2:TGID_Y_EN: 0
; COMPUTE_PGM_RSRC2:TGID_Z_EN: 1
; COMPUTE_PGM_RSRC2:TIDIG_COMP_CNT: 0
	.section	.text._ZL22rocblas_scopy_2_kernelILi256EPKfPfEviT0_llT1_lli,"axG",@progbits,_ZL22rocblas_scopy_2_kernelILi256EPKfPfEviT0_llT1_lli,comdat
	.globl	_ZL22rocblas_scopy_2_kernelILi256EPKfPfEviT0_llT1_lli ; -- Begin function _ZL22rocblas_scopy_2_kernelILi256EPKfPfEviT0_llT1_lli
	.p2align	8
	.type	_ZL22rocblas_scopy_2_kernelILi256EPKfPfEviT0_llT1_lli,@function
_ZL22rocblas_scopy_2_kernelILi256EPKfPfEviT0_llT1_lli: ; @_ZL22rocblas_scopy_2_kernelILi256EPKfPfEviT0_llT1_lli
; %bb.0:
	s_load_b32 s12, s[0:1], 0x38
	s_bfe_u32 s2, ttmp6, 0x40014
	s_lshr_b32 s3, ttmp7, 16
	s_add_co_i32 s2, s2, 1
	s_bfe_u32 s4, ttmp6, 0x40008
	s_mul_i32 s2, s3, s2
	s_getreg_b32 s13, hwreg(HW_REG_IB_STS2, 6, 4)
	s_add_co_i32 s4, s4, s2
	s_cmp_eq_u32 s13, 0
	s_cselect_b32 s2, s3, s4
	s_mov_b32 s3, 0
	s_wait_kmcnt 0x0
	s_cmp_ge_u32 s2, s12
	s_cbranch_scc1 .LBB1_7
; %bb.1:
	s_clause 0x3
	s_load_b32 s20, s[0:1], 0x0
	s_load_b128 s[4:7], s[0:1], 0x10
	s_load_b128 s[8:11], s[0:1], 0x28
	s_load_b64 s[14:15], s[0:1], 0x8
	s_bfe_u32 s18, ttmp6, 0x4000c
	s_load_b64 s[16:17], s[0:1], 0x20
	s_add_co_i32 s18, s18, 1
	s_wait_xcnt 0x0
	s_and_b32 s0, ttmp6, 15
	s_mul_i32 s1, ttmp9, s18
	v_dual_mov_b32 v1, 0 :: v_dual_lshlrev_b32 v0, 1, v0
	s_add_co_i32 s0, s0, s1
	s_cmp_eq_u32 s13, 0
	s_cselect_b32 s0, ttmp9, s0
	s_delay_alu instid0(VALU_DEP_1) | instid1(SALU_CYCLE_1)
	v_lshl_or_b32 v0, s0, 9, v0
	s_wait_kmcnt 0x0
	s_add_co_i32 s18, s20, -1
	s_lshl_b64 s[4:5], s[4:5], 2
	s_ashr_i32 s19, s18, 31
	s_lshl_b64 s[8:9], s[8:9], 2
	v_cmp_eq_u64_e64 s0, s[18:19], v[0:1]
	v_cmp_gt_i64_e32 vcc_lo, s[18:19], v[0:1]
	v_lshlrev_b64_e32 v[0:1], 2, v[0:1]
	s_bitcmp1_b32 s20, 0
	s_add_nc_u64 s[4:5], s[14:15], s[4:5]
	s_cselect_b32 s1, -1, 0
	s_add_nc_u64 s[8:9], s[16:17], s[8:9]
	s_and_b32 s0, s1, s0
	s_branch .LBB1_3
.LBB1_2:                                ;   in Loop: Header=BB1_3 Depth=1
	s_wait_xcnt 0x0
	s_or_b32 exec_lo, exec_lo, s1
	s_add_co_i32 s2, s2, 0x10000
	s_delay_alu instid0(SALU_CYCLE_1)
	s_cmp_lt_u32 s2, s12
	s_cbranch_scc0 .LBB1_7
.LBB1_3:                                ; =>This Inner Loop Header: Depth=1
	s_mul_u64 s[14:15], s[6:7], s[2:3]
	s_mul_u64 s[16:17], s[10:11], s[2:3]
	s_lshl_b64 s[14:15], s[14:15], 2
	s_lshl_b64 s[16:17], s[16:17], 2
	s_add_nc_u64 s[14:15], s[4:5], s[14:15]
	s_add_nc_u64 s[16:17], s[8:9], s[16:17]
	v_add_nc_u64_e32 v[2:3], s[14:15], v[0:1]
	v_add_nc_u64_e32 v[4:5], s[16:17], v[0:1]
	s_and_saveexec_b32 s1, vcc_lo
	s_cbranch_execnz .LBB1_5
; %bb.4:                                ;   in Loop: Header=BB1_3 Depth=1
	s_or_b32 exec_lo, exec_lo, s1
	s_and_saveexec_b32 s1, s0
	s_cbranch_execz .LBB1_2
	s_branch .LBB1_6
.LBB1_5:                                ;   in Loop: Header=BB1_3 Depth=1
	global_load_b64 v[6:7], v[2:3], off
	s_wait_loadcnt 0x0
	global_store_b64 v[4:5], v[6:7], off
	s_wait_xcnt 0x0
	s_or_b32 exec_lo, exec_lo, s1
	s_and_saveexec_b32 s1, s0
	s_cbranch_execz .LBB1_2
.LBB1_6:                                ;   in Loop: Header=BB1_3 Depth=1
	global_load_b32 v2, v[2:3], off
	s_wait_loadcnt 0x0
	global_store_b32 v[4:5], v2, off
	s_branch .LBB1_2
.LBB1_7:
	s_endpgm
	.section	.rodata,"a",@progbits
	.p2align	6, 0x0
	.amdhsa_kernel _ZL22rocblas_scopy_2_kernelILi256EPKfPfEviT0_llT1_lli
		.amdhsa_group_segment_fixed_size 0
		.amdhsa_private_segment_fixed_size 0
		.amdhsa_kernarg_size 60
		.amdhsa_user_sgpr_count 2
		.amdhsa_user_sgpr_dispatch_ptr 0
		.amdhsa_user_sgpr_queue_ptr 0
		.amdhsa_user_sgpr_kernarg_segment_ptr 1
		.amdhsa_user_sgpr_dispatch_id 0
		.amdhsa_user_sgpr_kernarg_preload_length 0
		.amdhsa_user_sgpr_kernarg_preload_offset 0
		.amdhsa_user_sgpr_private_segment_size 0
		.amdhsa_wavefront_size32 1
		.amdhsa_uses_dynamic_stack 0
		.amdhsa_enable_private_segment 0
		.amdhsa_system_sgpr_workgroup_id_x 1
		.amdhsa_system_sgpr_workgroup_id_y 0
		.amdhsa_system_sgpr_workgroup_id_z 1
		.amdhsa_system_sgpr_workgroup_info 0
		.amdhsa_system_vgpr_workitem_id 0
		.amdhsa_next_free_vgpr 8
		.amdhsa_next_free_sgpr 21
		.amdhsa_named_barrier_count 0
		.amdhsa_reserve_vcc 1
		.amdhsa_float_round_mode_32 0
		.amdhsa_float_round_mode_16_64 0
		.amdhsa_float_denorm_mode_32 3
		.amdhsa_float_denorm_mode_16_64 3
		.amdhsa_fp16_overflow 0
		.amdhsa_memory_ordered 1
		.amdhsa_forward_progress 1
		.amdhsa_inst_pref_size 4
		.amdhsa_round_robin_scheduling 0
		.amdhsa_exception_fp_ieee_invalid_op 0
		.amdhsa_exception_fp_denorm_src 0
		.amdhsa_exception_fp_ieee_div_zero 0
		.amdhsa_exception_fp_ieee_overflow 0
		.amdhsa_exception_fp_ieee_underflow 0
		.amdhsa_exception_fp_ieee_inexact 0
		.amdhsa_exception_int_div_zero 0
	.end_amdhsa_kernel
	.section	.text._ZL22rocblas_scopy_2_kernelILi256EPKfPfEviT0_llT1_lli,"axG",@progbits,_ZL22rocblas_scopy_2_kernelILi256EPKfPfEviT0_llT1_lli,comdat
.Lfunc_end1:
	.size	_ZL22rocblas_scopy_2_kernelILi256EPKfPfEviT0_llT1_lli, .Lfunc_end1-_ZL22rocblas_scopy_2_kernelILi256EPKfPfEviT0_llT1_lli
                                        ; -- End function
	.set _ZL22rocblas_scopy_2_kernelILi256EPKfPfEviT0_llT1_lli.num_vgpr, 8
	.set _ZL22rocblas_scopy_2_kernelILi256EPKfPfEviT0_llT1_lli.num_agpr, 0
	.set _ZL22rocblas_scopy_2_kernelILi256EPKfPfEviT0_llT1_lli.numbered_sgpr, 21
	.set _ZL22rocblas_scopy_2_kernelILi256EPKfPfEviT0_llT1_lli.num_named_barrier, 0
	.set _ZL22rocblas_scopy_2_kernelILi256EPKfPfEviT0_llT1_lli.private_seg_size, 0
	.set _ZL22rocblas_scopy_2_kernelILi256EPKfPfEviT0_llT1_lli.uses_vcc, 1
	.set _ZL22rocblas_scopy_2_kernelILi256EPKfPfEviT0_llT1_lli.uses_flat_scratch, 0
	.set _ZL22rocblas_scopy_2_kernelILi256EPKfPfEviT0_llT1_lli.has_dyn_sized_stack, 0
	.set _ZL22rocblas_scopy_2_kernelILi256EPKfPfEviT0_llT1_lli.has_recursion, 0
	.set _ZL22rocblas_scopy_2_kernelILi256EPKfPfEviT0_llT1_lli.has_indirect_call, 0
	.section	.AMDGPU.csdata,"",@progbits
; Kernel info:
; codeLenInByte = 392
; TotalNumSgprs: 23
; NumVgprs: 8
; ScratchSize: 0
; MemoryBound: 0
; FloatMode: 240
; IeeeMode: 1
; LDSByteSize: 0 bytes/workgroup (compile time only)
; SGPRBlocks: 0
; VGPRBlocks: 0
; NumSGPRsForWavesPerEU: 23
; NumVGPRsForWavesPerEU: 8
; NamedBarCnt: 0
; Occupancy: 16
; WaveLimiterHint : 0
; COMPUTE_PGM_RSRC2:SCRATCH_EN: 0
; COMPUTE_PGM_RSRC2:USER_SGPR: 2
; COMPUTE_PGM_RSRC2:TRAP_HANDLER: 0
; COMPUTE_PGM_RSRC2:TGID_X_EN: 1
; COMPUTE_PGM_RSRC2:TGID_Y_EN: 0
; COMPUTE_PGM_RSRC2:TGID_Z_EN: 1
; COMPUTE_PGM_RSRC2:TIDIG_COMP_CNT: 0
	.section	.text._ZL19rocblas_copy_kernelIiLi256EPKdPdEviT1_lT_lT2_lS4_li,"axG",@progbits,_ZL19rocblas_copy_kernelIiLi256EPKdPdEviT1_lT_lT2_lS4_li,comdat
	.globl	_ZL19rocblas_copy_kernelIiLi256EPKdPdEviT1_lT_lT2_lS4_li ; -- Begin function _ZL19rocblas_copy_kernelIiLi256EPKdPdEviT1_lT_lT2_lS4_li
	.p2align	8
	.type	_ZL19rocblas_copy_kernelIiLi256EPKdPdEviT1_lT_lT2_lS4_li,@function
_ZL19rocblas_copy_kernelIiLi256EPKdPdEviT1_lT_lT2_lS4_li: ; @_ZL19rocblas_copy_kernelIiLi256EPKdPdEviT1_lT_lT2_lS4_li
; %bb.0:
	s_load_b32 s12, s[0:1], 0x48
	s_bfe_u32 s2, ttmp6, 0x40014
	s_lshr_b32 s3, ttmp7, 16
	s_add_co_i32 s2, s2, 1
	s_bfe_u32 s4, ttmp6, 0x40008
	s_mul_i32 s2, s3, s2
	s_getreg_b32 s8, hwreg(HW_REG_IB_STS2, 6, 4)
	s_add_co_i32 s4, s4, s2
	s_cmp_eq_u32 s8, 0
	s_cselect_b32 s2, s3, s4
	s_mov_b32 s3, 0
	s_wait_kmcnt 0x0
	s_cmp_ge_u32 s2, s12
	s_cbranch_scc1 .LBB2_5
; %bb.1:
	s_clause 0x3
	s_load_b32 s14, s[0:1], 0x0
	s_load_b32 s10, s[0:1], 0x18
	s_load_b96 s[16:18], s[0:1], 0x30
	s_load_b128 s[4:7], s[0:1], 0x8
	s_bfe_u32 s9, ttmp6, 0x4000c
	s_and_b32 s11, ttmp6, 15
	s_add_co_i32 s9, s9, 1
	v_mov_b32_e32 v1, 0
	s_mul_i32 s9, ttmp9, s9
	s_delay_alu instid0(SALU_CYCLE_1)
	s_add_co_i32 s13, s11, s9
	s_wait_kmcnt 0x0
	s_ashr_i32 s15, s14, 31
	s_ashr_i32 s11, s10, 31
	;; [unrolled: 1-line block ×3, first 2 shown]
	s_lshl_b64 s[20:21], s[6:7], 3
	s_lshl_b64 s[16:17], s[16:17], 3
	s_cmp_eq_u32 s8, 0
	s_mov_b32 s8, s18
	s_cselect_b32 s6, ttmp9, s13
	s_delay_alu instid0(SALU_CYCLE_1) | instskip(NEXT) | instid1(VALU_DEP_1)
	v_lshl_or_b32 v0, s6, 8, v0
	v_mul_u64_e32 v[2:3], s[10:11], v[0:1]
	v_mul_u64_e32 v[4:5], s[8:9], v[0:1]
	s_clause 0x1
	s_load_b128 s[8:11], s[0:1], 0x20
	s_load_b64 s[6:7], s[0:1], 0x40
	s_wait_xcnt 0x0
	s_add_nc_u64 s[0:1], s[4:5], s[20:21]
	v_cmp_gt_i64_e32 vcc_lo, s[14:15], v[0:1]
	s_wait_kmcnt 0x0
	s_add_nc_u64 s[4:5], s[10:11], s[16:17]
	s_delay_alu instid0(VALU_DEP_3) | instskip(NEXT) | instid1(VALU_DEP_3)
	v_lshl_add_u64 v[0:1], v[2:3], 3, s[0:1]
	v_lshl_add_u64 v[2:3], v[4:5], 3, s[4:5]
	s_branch .LBB2_3
.LBB2_2:                                ;   in Loop: Header=BB2_3 Depth=1
	s_wait_xcnt 0x0
	s_or_b32 exec_lo, exec_lo, s0
	s_add_co_i32 s2, s2, 0x10000
	s_delay_alu instid0(SALU_CYCLE_1)
	s_cmp_lt_u32 s2, s12
	s_cbranch_scc0 .LBB2_5
.LBB2_3:                                ; =>This Inner Loop Header: Depth=1
	s_and_saveexec_b32 s0, vcc_lo
	s_cbranch_execz .LBB2_2
; %bb.4:                                ;   in Loop: Header=BB2_3 Depth=1
	s_mul_u64 s[4:5], s[8:9], s[2:3]
	s_delay_alu instid0(SALU_CYCLE_1) | instskip(SKIP_1) | instid1(SALU_CYCLE_1)
	v_lshl_add_u64 v[4:5], s[4:5], 3, v[0:1]
	s_mul_u64 s[4:5], s[6:7], s[2:3]
	v_lshl_add_u64 v[6:7], s[4:5], 3, v[2:3]
	global_load_b64 v[4:5], v[4:5], off
	s_wait_loadcnt 0x0
	global_store_b64 v[6:7], v[4:5], off
	s_branch .LBB2_2
.LBB2_5:
	s_endpgm
	.section	.rodata,"a",@progbits
	.p2align	6, 0x0
	.amdhsa_kernel _ZL19rocblas_copy_kernelIiLi256EPKdPdEviT1_lT_lT2_lS4_li
		.amdhsa_group_segment_fixed_size 0
		.amdhsa_private_segment_fixed_size 0
		.amdhsa_kernarg_size 76
		.amdhsa_user_sgpr_count 2
		.amdhsa_user_sgpr_dispatch_ptr 0
		.amdhsa_user_sgpr_queue_ptr 0
		.amdhsa_user_sgpr_kernarg_segment_ptr 1
		.amdhsa_user_sgpr_dispatch_id 0
		.amdhsa_user_sgpr_kernarg_preload_length 0
		.amdhsa_user_sgpr_kernarg_preload_offset 0
		.amdhsa_user_sgpr_private_segment_size 0
		.amdhsa_wavefront_size32 1
		.amdhsa_uses_dynamic_stack 0
		.amdhsa_enable_private_segment 0
		.amdhsa_system_sgpr_workgroup_id_x 1
		.amdhsa_system_sgpr_workgroup_id_y 0
		.amdhsa_system_sgpr_workgroup_id_z 1
		.amdhsa_system_sgpr_workgroup_info 0
		.amdhsa_system_vgpr_workitem_id 0
		.amdhsa_next_free_vgpr 8
		.amdhsa_next_free_sgpr 22
		.amdhsa_named_barrier_count 0
		.amdhsa_reserve_vcc 1
		.amdhsa_float_round_mode_32 0
		.amdhsa_float_round_mode_16_64 0
		.amdhsa_float_denorm_mode_32 3
		.amdhsa_float_denorm_mode_16_64 3
		.amdhsa_fp16_overflow 0
		.amdhsa_memory_ordered 1
		.amdhsa_forward_progress 1
		.amdhsa_inst_pref_size 3
		.amdhsa_round_robin_scheduling 0
		.amdhsa_exception_fp_ieee_invalid_op 0
		.amdhsa_exception_fp_denorm_src 0
		.amdhsa_exception_fp_ieee_div_zero 0
		.amdhsa_exception_fp_ieee_overflow 0
		.amdhsa_exception_fp_ieee_underflow 0
		.amdhsa_exception_fp_ieee_inexact 0
		.amdhsa_exception_int_div_zero 0
	.end_amdhsa_kernel
	.section	.text._ZL19rocblas_copy_kernelIiLi256EPKdPdEviT1_lT_lT2_lS4_li,"axG",@progbits,_ZL19rocblas_copy_kernelIiLi256EPKdPdEviT1_lT_lT2_lS4_li,comdat
.Lfunc_end2:
	.size	_ZL19rocblas_copy_kernelIiLi256EPKdPdEviT1_lT_lT2_lS4_li, .Lfunc_end2-_ZL19rocblas_copy_kernelIiLi256EPKdPdEviT1_lT_lT2_lS4_li
                                        ; -- End function
	.set _ZL19rocblas_copy_kernelIiLi256EPKdPdEviT1_lT_lT2_lS4_li.num_vgpr, 8
	.set _ZL19rocblas_copy_kernelIiLi256EPKdPdEviT1_lT_lT2_lS4_li.num_agpr, 0
	.set _ZL19rocblas_copy_kernelIiLi256EPKdPdEviT1_lT_lT2_lS4_li.numbered_sgpr, 22
	.set _ZL19rocblas_copy_kernelIiLi256EPKdPdEviT1_lT_lT2_lS4_li.num_named_barrier, 0
	.set _ZL19rocblas_copy_kernelIiLi256EPKdPdEviT1_lT_lT2_lS4_li.private_seg_size, 0
	.set _ZL19rocblas_copy_kernelIiLi256EPKdPdEviT1_lT_lT2_lS4_li.uses_vcc, 1
	.set _ZL19rocblas_copy_kernelIiLi256EPKdPdEviT1_lT_lT2_lS4_li.uses_flat_scratch, 0
	.set _ZL19rocblas_copy_kernelIiLi256EPKdPdEviT1_lT_lT2_lS4_li.has_dyn_sized_stack, 0
	.set _ZL19rocblas_copy_kernelIiLi256EPKdPdEviT1_lT_lT2_lS4_li.has_recursion, 0
	.set _ZL19rocblas_copy_kernelIiLi256EPKdPdEviT1_lT_lT2_lS4_li.has_indirect_call, 0
	.section	.AMDGPU.csdata,"",@progbits
; Kernel info:
; codeLenInByte = 356
; TotalNumSgprs: 24
; NumVgprs: 8
; ScratchSize: 0
; MemoryBound: 0
; FloatMode: 240
; IeeeMode: 1
; LDSByteSize: 0 bytes/workgroup (compile time only)
; SGPRBlocks: 0
; VGPRBlocks: 0
; NumSGPRsForWavesPerEU: 24
; NumVGPRsForWavesPerEU: 8
; NamedBarCnt: 0
; Occupancy: 16
; WaveLimiterHint : 0
; COMPUTE_PGM_RSRC2:SCRATCH_EN: 0
; COMPUTE_PGM_RSRC2:USER_SGPR: 2
; COMPUTE_PGM_RSRC2:TRAP_HANDLER: 0
; COMPUTE_PGM_RSRC2:TGID_X_EN: 1
; COMPUTE_PGM_RSRC2:TGID_Y_EN: 0
; COMPUTE_PGM_RSRC2:TGID_Z_EN: 1
; COMPUTE_PGM_RSRC2:TIDIG_COMP_CNT: 0
	.section	.text._ZL19rocblas_copy_kernelIiLi256EPKDF16_PDF16_EviT1_lT_lT2_lS4_li,"axG",@progbits,_ZL19rocblas_copy_kernelIiLi256EPKDF16_PDF16_EviT1_lT_lT2_lS4_li,comdat
	.globl	_ZL19rocblas_copy_kernelIiLi256EPKDF16_PDF16_EviT1_lT_lT2_lS4_li ; -- Begin function _ZL19rocblas_copy_kernelIiLi256EPKDF16_PDF16_EviT1_lT_lT2_lS4_li
	.p2align	8
	.type	_ZL19rocblas_copy_kernelIiLi256EPKDF16_PDF16_EviT1_lT_lT2_lS4_li,@function
_ZL19rocblas_copy_kernelIiLi256EPKDF16_PDF16_EviT1_lT_lT2_lS4_li: ; @_ZL19rocblas_copy_kernelIiLi256EPKDF16_PDF16_EviT1_lT_lT2_lS4_li
; %bb.0:
	s_load_b32 s12, s[0:1], 0x48
	s_bfe_u32 s2, ttmp6, 0x40014
	s_lshr_b32 s3, ttmp7, 16
	s_add_co_i32 s2, s2, 1
	s_bfe_u32 s4, ttmp6, 0x40008
	s_mul_i32 s2, s3, s2
	s_getreg_b32 s8, hwreg(HW_REG_IB_STS2, 6, 4)
	s_add_co_i32 s4, s4, s2
	s_cmp_eq_u32 s8, 0
	s_cselect_b32 s2, s3, s4
	s_mov_b32 s3, 0
	s_wait_kmcnt 0x0
	s_cmp_ge_u32 s2, s12
	s_cbranch_scc1 .LBB3_5
; %bb.1:
	s_clause 0x3
	s_load_b32 s14, s[0:1], 0x0
	s_load_b32 s10, s[0:1], 0x18
	s_load_b96 s[16:18], s[0:1], 0x30
	s_load_b128 s[4:7], s[0:1], 0x8
	s_bfe_u32 s9, ttmp6, 0x4000c
	s_and_b32 s11, ttmp6, 15
	s_add_co_i32 s9, s9, 1
	v_mov_b32_e32 v1, 0
	s_mul_i32 s9, ttmp9, s9
	s_delay_alu instid0(SALU_CYCLE_1)
	s_add_co_i32 s13, s11, s9
	s_wait_kmcnt 0x0
	s_ashr_i32 s15, s14, 31
	s_ashr_i32 s11, s10, 31
	;; [unrolled: 1-line block ×3, first 2 shown]
	s_lshl_b64 s[20:21], s[6:7], 1
	s_lshl_b64 s[16:17], s[16:17], 1
	s_cmp_eq_u32 s8, 0
	s_mov_b32 s8, s18
	s_cselect_b32 s6, ttmp9, s13
	s_delay_alu instid0(SALU_CYCLE_1) | instskip(NEXT) | instid1(VALU_DEP_1)
	v_lshl_or_b32 v0, s6, 8, v0
	v_mul_u64_e32 v[2:3], s[10:11], v[0:1]
	v_mul_u64_e32 v[4:5], s[8:9], v[0:1]
	s_clause 0x1
	s_load_b128 s[8:11], s[0:1], 0x20
	s_load_b64 s[6:7], s[0:1], 0x40
	s_wait_xcnt 0x0
	s_add_nc_u64 s[0:1], s[4:5], s[20:21]
	v_cmp_gt_i64_e32 vcc_lo, s[14:15], v[0:1]
	s_wait_kmcnt 0x0
	s_add_nc_u64 s[4:5], s[10:11], s[16:17]
	s_delay_alu instid0(VALU_DEP_3) | instskip(NEXT) | instid1(VALU_DEP_3)
	v_lshl_add_u64 v[0:1], v[2:3], 1, s[0:1]
	v_lshl_add_u64 v[2:3], v[4:5], 1, s[4:5]
	s_branch .LBB3_3
.LBB3_2:                                ;   in Loop: Header=BB3_3 Depth=1
	s_wait_xcnt 0x0
	s_or_b32 exec_lo, exec_lo, s0
	s_add_co_i32 s2, s2, 0x10000
	s_delay_alu instid0(SALU_CYCLE_1)
	s_cmp_lt_u32 s2, s12
	s_cbranch_scc0 .LBB3_5
.LBB3_3:                                ; =>This Inner Loop Header: Depth=1
	s_and_saveexec_b32 s0, vcc_lo
	s_cbranch_execz .LBB3_2
; %bb.4:                                ;   in Loop: Header=BB3_3 Depth=1
	s_mul_u64 s[4:5], s[8:9], s[2:3]
	s_delay_alu instid0(SALU_CYCLE_1)
	v_lshl_add_u64 v[4:5], s[4:5], 1, v[0:1]
	s_mul_u64 s[4:5], s[6:7], s[2:3]
	global_load_u16 v6, v[4:5], off
	s_wait_xcnt 0x0
	v_lshl_add_u64 v[4:5], s[4:5], 1, v[2:3]
	s_wait_loadcnt 0x0
	global_store_b16 v[4:5], v6, off
	s_branch .LBB3_2
.LBB3_5:
	s_endpgm
	.section	.rodata,"a",@progbits
	.p2align	6, 0x0
	.amdhsa_kernel _ZL19rocblas_copy_kernelIiLi256EPKDF16_PDF16_EviT1_lT_lT2_lS4_li
		.amdhsa_group_segment_fixed_size 0
		.amdhsa_private_segment_fixed_size 0
		.amdhsa_kernarg_size 76
		.amdhsa_user_sgpr_count 2
		.amdhsa_user_sgpr_dispatch_ptr 0
		.amdhsa_user_sgpr_queue_ptr 0
		.amdhsa_user_sgpr_kernarg_segment_ptr 1
		.amdhsa_user_sgpr_dispatch_id 0
		.amdhsa_user_sgpr_kernarg_preload_length 0
		.amdhsa_user_sgpr_kernarg_preload_offset 0
		.amdhsa_user_sgpr_private_segment_size 0
		.amdhsa_wavefront_size32 1
		.amdhsa_uses_dynamic_stack 0
		.amdhsa_enable_private_segment 0
		.amdhsa_system_sgpr_workgroup_id_x 1
		.amdhsa_system_sgpr_workgroup_id_y 0
		.amdhsa_system_sgpr_workgroup_id_z 1
		.amdhsa_system_sgpr_workgroup_info 0
		.amdhsa_system_vgpr_workitem_id 0
		.amdhsa_next_free_vgpr 7
		.amdhsa_next_free_sgpr 22
		.amdhsa_named_barrier_count 0
		.amdhsa_reserve_vcc 1
		.amdhsa_float_round_mode_32 0
		.amdhsa_float_round_mode_16_64 0
		.amdhsa_float_denorm_mode_32 3
		.amdhsa_float_denorm_mode_16_64 3
		.amdhsa_fp16_overflow 0
		.amdhsa_memory_ordered 1
		.amdhsa_forward_progress 1
		.amdhsa_inst_pref_size 3
		.amdhsa_round_robin_scheduling 0
		.amdhsa_exception_fp_ieee_invalid_op 0
		.amdhsa_exception_fp_denorm_src 0
		.amdhsa_exception_fp_ieee_div_zero 0
		.amdhsa_exception_fp_ieee_overflow 0
		.amdhsa_exception_fp_ieee_underflow 0
		.amdhsa_exception_fp_ieee_inexact 0
		.amdhsa_exception_int_div_zero 0
	.end_amdhsa_kernel
	.section	.text._ZL19rocblas_copy_kernelIiLi256EPKDF16_PDF16_EviT1_lT_lT2_lS4_li,"axG",@progbits,_ZL19rocblas_copy_kernelIiLi256EPKDF16_PDF16_EviT1_lT_lT2_lS4_li,comdat
.Lfunc_end3:
	.size	_ZL19rocblas_copy_kernelIiLi256EPKDF16_PDF16_EviT1_lT_lT2_lS4_li, .Lfunc_end3-_ZL19rocblas_copy_kernelIiLi256EPKDF16_PDF16_EviT1_lT_lT2_lS4_li
                                        ; -- End function
	.set _ZL19rocblas_copy_kernelIiLi256EPKDF16_PDF16_EviT1_lT_lT2_lS4_li.num_vgpr, 7
	.set _ZL19rocblas_copy_kernelIiLi256EPKDF16_PDF16_EviT1_lT_lT2_lS4_li.num_agpr, 0
	.set _ZL19rocblas_copy_kernelIiLi256EPKDF16_PDF16_EviT1_lT_lT2_lS4_li.numbered_sgpr, 22
	.set _ZL19rocblas_copy_kernelIiLi256EPKDF16_PDF16_EviT1_lT_lT2_lS4_li.num_named_barrier, 0
	.set _ZL19rocblas_copy_kernelIiLi256EPKDF16_PDF16_EviT1_lT_lT2_lS4_li.private_seg_size, 0
	.set _ZL19rocblas_copy_kernelIiLi256EPKDF16_PDF16_EviT1_lT_lT2_lS4_li.uses_vcc, 1
	.set _ZL19rocblas_copy_kernelIiLi256EPKDF16_PDF16_EviT1_lT_lT2_lS4_li.uses_flat_scratch, 0
	.set _ZL19rocblas_copy_kernelIiLi256EPKDF16_PDF16_EviT1_lT_lT2_lS4_li.has_dyn_sized_stack, 0
	.set _ZL19rocblas_copy_kernelIiLi256EPKDF16_PDF16_EviT1_lT_lT2_lS4_li.has_recursion, 0
	.set _ZL19rocblas_copy_kernelIiLi256EPKDF16_PDF16_EviT1_lT_lT2_lS4_li.has_indirect_call, 0
	.section	.AMDGPU.csdata,"",@progbits
; Kernel info:
; codeLenInByte = 360
; TotalNumSgprs: 24
; NumVgprs: 7
; ScratchSize: 0
; MemoryBound: 0
; FloatMode: 240
; IeeeMode: 1
; LDSByteSize: 0 bytes/workgroup (compile time only)
; SGPRBlocks: 0
; VGPRBlocks: 0
; NumSGPRsForWavesPerEU: 24
; NumVGPRsForWavesPerEU: 7
; NamedBarCnt: 0
; Occupancy: 16
; WaveLimiterHint : 0
; COMPUTE_PGM_RSRC2:SCRATCH_EN: 0
; COMPUTE_PGM_RSRC2:USER_SGPR: 2
; COMPUTE_PGM_RSRC2:TRAP_HANDLER: 0
; COMPUTE_PGM_RSRC2:TGID_X_EN: 1
; COMPUTE_PGM_RSRC2:TGID_Y_EN: 0
; COMPUTE_PGM_RSRC2:TGID_Z_EN: 1
; COMPUTE_PGM_RSRC2:TIDIG_COMP_CNT: 0
	.section	.text._ZL19rocblas_copy_kernelIiLi256EPK19rocblas_complex_numIfEPS1_EviT1_lT_lT2_lS6_li,"axG",@progbits,_ZL19rocblas_copy_kernelIiLi256EPK19rocblas_complex_numIfEPS1_EviT1_lT_lT2_lS6_li,comdat
	.globl	_ZL19rocblas_copy_kernelIiLi256EPK19rocblas_complex_numIfEPS1_EviT1_lT_lT2_lS6_li ; -- Begin function _ZL19rocblas_copy_kernelIiLi256EPK19rocblas_complex_numIfEPS1_EviT1_lT_lT2_lS6_li
	.p2align	8
	.type	_ZL19rocblas_copy_kernelIiLi256EPK19rocblas_complex_numIfEPS1_EviT1_lT_lT2_lS6_li,@function
_ZL19rocblas_copy_kernelIiLi256EPK19rocblas_complex_numIfEPS1_EviT1_lT_lT2_lS6_li: ; @_ZL19rocblas_copy_kernelIiLi256EPK19rocblas_complex_numIfEPS1_EviT1_lT_lT2_lS6_li
; %bb.0:
	s_load_b32 s12, s[0:1], 0x48
	s_bfe_u32 s2, ttmp6, 0x40014
	s_lshr_b32 s3, ttmp7, 16
	s_add_co_i32 s2, s2, 1
	s_bfe_u32 s4, ttmp6, 0x40008
	s_mul_i32 s2, s3, s2
	s_getreg_b32 s8, hwreg(HW_REG_IB_STS2, 6, 4)
	s_add_co_i32 s4, s4, s2
	s_cmp_eq_u32 s8, 0
	s_cselect_b32 s2, s3, s4
	s_mov_b32 s3, 0
	s_wait_kmcnt 0x0
	s_cmp_ge_u32 s2, s12
	s_cbranch_scc1 .LBB4_5
; %bb.1:
	s_clause 0x3
	s_load_b32 s14, s[0:1], 0x0
	s_load_b32 s10, s[0:1], 0x18
	s_load_b96 s[16:18], s[0:1], 0x30
	s_load_b128 s[4:7], s[0:1], 0x8
	s_bfe_u32 s9, ttmp6, 0x4000c
	s_and_b32 s11, ttmp6, 15
	s_add_co_i32 s9, s9, 1
	v_mov_b32_e32 v1, 0
	s_mul_i32 s9, ttmp9, s9
	s_delay_alu instid0(SALU_CYCLE_1)
	s_add_co_i32 s13, s11, s9
	s_wait_kmcnt 0x0
	s_ashr_i32 s15, s14, 31
	s_ashr_i32 s11, s10, 31
	;; [unrolled: 1-line block ×3, first 2 shown]
	s_lshl_b64 s[20:21], s[6:7], 3
	s_lshl_b64 s[16:17], s[16:17], 3
	s_cmp_eq_u32 s8, 0
	s_mov_b32 s8, s18
	s_cselect_b32 s6, ttmp9, s13
	s_delay_alu instid0(SALU_CYCLE_1) | instskip(NEXT) | instid1(VALU_DEP_1)
	v_lshl_or_b32 v0, s6, 8, v0
	v_mul_u64_e32 v[2:3], s[10:11], v[0:1]
	v_mul_u64_e32 v[4:5], s[8:9], v[0:1]
	s_clause 0x1
	s_load_b128 s[8:11], s[0:1], 0x20
	s_load_b64 s[6:7], s[0:1], 0x40
	s_wait_xcnt 0x0
	s_add_nc_u64 s[0:1], s[4:5], s[20:21]
	v_cmp_gt_i64_e32 vcc_lo, s[14:15], v[0:1]
	s_wait_kmcnt 0x0
	s_add_nc_u64 s[4:5], s[10:11], s[16:17]
	s_delay_alu instid0(VALU_DEP_3) | instskip(NEXT) | instid1(VALU_DEP_3)
	v_lshl_add_u64 v[0:1], v[2:3], 3, s[0:1]
	v_lshl_add_u64 v[2:3], v[4:5], 3, s[4:5]
	s_branch .LBB4_3
.LBB4_2:                                ;   in Loop: Header=BB4_3 Depth=1
	s_wait_xcnt 0x0
	s_or_b32 exec_lo, exec_lo, s0
	s_add_co_i32 s2, s2, 0x10000
	s_delay_alu instid0(SALU_CYCLE_1)
	s_cmp_lt_u32 s2, s12
	s_cbranch_scc0 .LBB4_5
.LBB4_3:                                ; =>This Inner Loop Header: Depth=1
	s_and_saveexec_b32 s0, vcc_lo
	s_cbranch_execz .LBB4_2
; %bb.4:                                ;   in Loop: Header=BB4_3 Depth=1
	s_mul_u64 s[4:5], s[8:9], s[2:3]
	s_delay_alu instid0(SALU_CYCLE_1) | instskip(SKIP_1) | instid1(SALU_CYCLE_1)
	v_lshl_add_u64 v[4:5], s[4:5], 3, v[0:1]
	s_mul_u64 s[4:5], s[6:7], s[2:3]
	v_lshl_add_u64 v[6:7], s[4:5], 3, v[2:3]
	global_load_b64 v[4:5], v[4:5], off
	s_wait_loadcnt 0x0
	global_store_b64 v[6:7], v[4:5], off
	s_branch .LBB4_2
.LBB4_5:
	s_endpgm
	.section	.rodata,"a",@progbits
	.p2align	6, 0x0
	.amdhsa_kernel _ZL19rocblas_copy_kernelIiLi256EPK19rocblas_complex_numIfEPS1_EviT1_lT_lT2_lS6_li
		.amdhsa_group_segment_fixed_size 0
		.amdhsa_private_segment_fixed_size 0
		.amdhsa_kernarg_size 76
		.amdhsa_user_sgpr_count 2
		.amdhsa_user_sgpr_dispatch_ptr 0
		.amdhsa_user_sgpr_queue_ptr 0
		.amdhsa_user_sgpr_kernarg_segment_ptr 1
		.amdhsa_user_sgpr_dispatch_id 0
		.amdhsa_user_sgpr_kernarg_preload_length 0
		.amdhsa_user_sgpr_kernarg_preload_offset 0
		.amdhsa_user_sgpr_private_segment_size 0
		.amdhsa_wavefront_size32 1
		.amdhsa_uses_dynamic_stack 0
		.amdhsa_enable_private_segment 0
		.amdhsa_system_sgpr_workgroup_id_x 1
		.amdhsa_system_sgpr_workgroup_id_y 0
		.amdhsa_system_sgpr_workgroup_id_z 1
		.amdhsa_system_sgpr_workgroup_info 0
		.amdhsa_system_vgpr_workitem_id 0
		.amdhsa_next_free_vgpr 8
		.amdhsa_next_free_sgpr 22
		.amdhsa_named_barrier_count 0
		.amdhsa_reserve_vcc 1
		.amdhsa_float_round_mode_32 0
		.amdhsa_float_round_mode_16_64 0
		.amdhsa_float_denorm_mode_32 3
		.amdhsa_float_denorm_mode_16_64 3
		.amdhsa_fp16_overflow 0
		.amdhsa_memory_ordered 1
		.amdhsa_forward_progress 1
		.amdhsa_inst_pref_size 3
		.amdhsa_round_robin_scheduling 0
		.amdhsa_exception_fp_ieee_invalid_op 0
		.amdhsa_exception_fp_denorm_src 0
		.amdhsa_exception_fp_ieee_div_zero 0
		.amdhsa_exception_fp_ieee_overflow 0
		.amdhsa_exception_fp_ieee_underflow 0
		.amdhsa_exception_fp_ieee_inexact 0
		.amdhsa_exception_int_div_zero 0
	.end_amdhsa_kernel
	.section	.text._ZL19rocblas_copy_kernelIiLi256EPK19rocblas_complex_numIfEPS1_EviT1_lT_lT2_lS6_li,"axG",@progbits,_ZL19rocblas_copy_kernelIiLi256EPK19rocblas_complex_numIfEPS1_EviT1_lT_lT2_lS6_li,comdat
.Lfunc_end4:
	.size	_ZL19rocblas_copy_kernelIiLi256EPK19rocblas_complex_numIfEPS1_EviT1_lT_lT2_lS6_li, .Lfunc_end4-_ZL19rocblas_copy_kernelIiLi256EPK19rocblas_complex_numIfEPS1_EviT1_lT_lT2_lS6_li
                                        ; -- End function
	.set _ZL19rocblas_copy_kernelIiLi256EPK19rocblas_complex_numIfEPS1_EviT1_lT_lT2_lS6_li.num_vgpr, 8
	.set _ZL19rocblas_copy_kernelIiLi256EPK19rocblas_complex_numIfEPS1_EviT1_lT_lT2_lS6_li.num_agpr, 0
	.set _ZL19rocblas_copy_kernelIiLi256EPK19rocblas_complex_numIfEPS1_EviT1_lT_lT2_lS6_li.numbered_sgpr, 22
	.set _ZL19rocblas_copy_kernelIiLi256EPK19rocblas_complex_numIfEPS1_EviT1_lT_lT2_lS6_li.num_named_barrier, 0
	.set _ZL19rocblas_copy_kernelIiLi256EPK19rocblas_complex_numIfEPS1_EviT1_lT_lT2_lS6_li.private_seg_size, 0
	.set _ZL19rocblas_copy_kernelIiLi256EPK19rocblas_complex_numIfEPS1_EviT1_lT_lT2_lS6_li.uses_vcc, 1
	.set _ZL19rocblas_copy_kernelIiLi256EPK19rocblas_complex_numIfEPS1_EviT1_lT_lT2_lS6_li.uses_flat_scratch, 0
	.set _ZL19rocblas_copy_kernelIiLi256EPK19rocblas_complex_numIfEPS1_EviT1_lT_lT2_lS6_li.has_dyn_sized_stack, 0
	.set _ZL19rocblas_copy_kernelIiLi256EPK19rocblas_complex_numIfEPS1_EviT1_lT_lT2_lS6_li.has_recursion, 0
	.set _ZL19rocblas_copy_kernelIiLi256EPK19rocblas_complex_numIfEPS1_EviT1_lT_lT2_lS6_li.has_indirect_call, 0
	.section	.AMDGPU.csdata,"",@progbits
; Kernel info:
; codeLenInByte = 356
; TotalNumSgprs: 24
; NumVgprs: 8
; ScratchSize: 0
; MemoryBound: 0
; FloatMode: 240
; IeeeMode: 1
; LDSByteSize: 0 bytes/workgroup (compile time only)
; SGPRBlocks: 0
; VGPRBlocks: 0
; NumSGPRsForWavesPerEU: 24
; NumVGPRsForWavesPerEU: 8
; NamedBarCnt: 0
; Occupancy: 16
; WaveLimiterHint : 0
; COMPUTE_PGM_RSRC2:SCRATCH_EN: 0
; COMPUTE_PGM_RSRC2:USER_SGPR: 2
; COMPUTE_PGM_RSRC2:TRAP_HANDLER: 0
; COMPUTE_PGM_RSRC2:TGID_X_EN: 1
; COMPUTE_PGM_RSRC2:TGID_Y_EN: 0
; COMPUTE_PGM_RSRC2:TGID_Z_EN: 1
; COMPUTE_PGM_RSRC2:TIDIG_COMP_CNT: 0
	.section	.text._ZL19rocblas_copy_kernelIiLi256EPK19rocblas_complex_numIdEPS1_EviT1_lT_lT2_lS6_li,"axG",@progbits,_ZL19rocblas_copy_kernelIiLi256EPK19rocblas_complex_numIdEPS1_EviT1_lT_lT2_lS6_li,comdat
	.globl	_ZL19rocblas_copy_kernelIiLi256EPK19rocblas_complex_numIdEPS1_EviT1_lT_lT2_lS6_li ; -- Begin function _ZL19rocblas_copy_kernelIiLi256EPK19rocblas_complex_numIdEPS1_EviT1_lT_lT2_lS6_li
	.p2align	8
	.type	_ZL19rocblas_copy_kernelIiLi256EPK19rocblas_complex_numIdEPS1_EviT1_lT_lT2_lS6_li,@function
_ZL19rocblas_copy_kernelIiLi256EPK19rocblas_complex_numIdEPS1_EviT1_lT_lT2_lS6_li: ; @_ZL19rocblas_copy_kernelIiLi256EPK19rocblas_complex_numIdEPS1_EviT1_lT_lT2_lS6_li
; %bb.0:
	s_load_b32 s12, s[0:1], 0x48
	s_bfe_u32 s2, ttmp6, 0x40014
	s_lshr_b32 s3, ttmp7, 16
	s_add_co_i32 s2, s2, 1
	s_bfe_u32 s4, ttmp6, 0x40008
	s_mul_i32 s2, s3, s2
	s_getreg_b32 s8, hwreg(HW_REG_IB_STS2, 6, 4)
	s_add_co_i32 s4, s4, s2
	s_cmp_eq_u32 s8, 0
	s_cselect_b32 s2, s3, s4
	s_mov_b32 s3, 0
	s_wait_kmcnt 0x0
	s_cmp_ge_u32 s2, s12
	s_cbranch_scc1 .LBB5_5
; %bb.1:
	s_clause 0x3
	s_load_b32 s14, s[0:1], 0x0
	s_load_b32 s10, s[0:1], 0x18
	s_load_b96 s[16:18], s[0:1], 0x30
	s_load_b128 s[4:7], s[0:1], 0x8
	s_bfe_u32 s9, ttmp6, 0x4000c
	s_and_b32 s11, ttmp6, 15
	s_add_co_i32 s9, s9, 1
	v_mov_b32_e32 v1, 0
	s_mul_i32 s9, ttmp9, s9
	s_delay_alu instid0(SALU_CYCLE_1)
	s_add_co_i32 s13, s11, s9
	s_wait_kmcnt 0x0
	s_ashr_i32 s15, s14, 31
	s_ashr_i32 s11, s10, 31
	;; [unrolled: 1-line block ×3, first 2 shown]
	s_lshl_b64 s[20:21], s[6:7], 4
	s_lshl_b64 s[16:17], s[16:17], 4
	s_cmp_eq_u32 s8, 0
	s_mov_b32 s8, s18
	s_cselect_b32 s6, ttmp9, s13
	s_delay_alu instid0(SALU_CYCLE_1) | instskip(NEXT) | instid1(VALU_DEP_1)
	v_lshl_or_b32 v0, s6, 8, v0
	v_mul_u64_e32 v[2:3], s[10:11], v[0:1]
	v_mul_u64_e32 v[4:5], s[8:9], v[0:1]
	s_clause 0x1
	s_load_b128 s[8:11], s[0:1], 0x20
	s_load_b64 s[6:7], s[0:1], 0x40
	s_wait_xcnt 0x0
	s_add_nc_u64 s[0:1], s[4:5], s[20:21]
	v_cmp_gt_i64_e32 vcc_lo, s[14:15], v[0:1]
	s_wait_kmcnt 0x0
	s_add_nc_u64 s[4:5], s[10:11], s[16:17]
	s_delay_alu instid0(VALU_DEP_3) | instskip(NEXT) | instid1(VALU_DEP_3)
	v_lshl_add_u64 v[0:1], v[2:3], 4, s[0:1]
	v_lshl_add_u64 v[2:3], v[4:5], 4, s[4:5]
	s_branch .LBB5_3
.LBB5_2:                                ;   in Loop: Header=BB5_3 Depth=1
	s_wait_xcnt 0x0
	s_or_b32 exec_lo, exec_lo, s0
	s_add_co_i32 s2, s2, 0x10000
	s_delay_alu instid0(SALU_CYCLE_1)
	s_cmp_lt_u32 s2, s12
	s_cbranch_scc0 .LBB5_5
.LBB5_3:                                ; =>This Inner Loop Header: Depth=1
	s_and_saveexec_b32 s0, vcc_lo
	s_cbranch_execz .LBB5_2
; %bb.4:                                ;   in Loop: Header=BB5_3 Depth=1
	s_mul_u64 s[4:5], s[8:9], s[2:3]
	s_delay_alu instid0(SALU_CYCLE_1) | instskip(SKIP_1) | instid1(SALU_CYCLE_1)
	v_lshl_add_u64 v[4:5], s[4:5], 4, v[0:1]
	s_mul_u64 s[4:5], s[6:7], s[2:3]
	v_lshl_add_u64 v[8:9], s[4:5], 4, v[2:3]
	global_load_b128 v[4:7], v[4:5], off
	s_wait_loadcnt 0x0
	global_store_b128 v[8:9], v[4:7], off
	s_branch .LBB5_2
.LBB5_5:
	s_endpgm
	.section	.rodata,"a",@progbits
	.p2align	6, 0x0
	.amdhsa_kernel _ZL19rocblas_copy_kernelIiLi256EPK19rocblas_complex_numIdEPS1_EviT1_lT_lT2_lS6_li
		.amdhsa_group_segment_fixed_size 0
		.amdhsa_private_segment_fixed_size 0
		.amdhsa_kernarg_size 76
		.amdhsa_user_sgpr_count 2
		.amdhsa_user_sgpr_dispatch_ptr 0
		.amdhsa_user_sgpr_queue_ptr 0
		.amdhsa_user_sgpr_kernarg_segment_ptr 1
		.amdhsa_user_sgpr_dispatch_id 0
		.amdhsa_user_sgpr_kernarg_preload_length 0
		.amdhsa_user_sgpr_kernarg_preload_offset 0
		.amdhsa_user_sgpr_private_segment_size 0
		.amdhsa_wavefront_size32 1
		.amdhsa_uses_dynamic_stack 0
		.amdhsa_enable_private_segment 0
		.amdhsa_system_sgpr_workgroup_id_x 1
		.amdhsa_system_sgpr_workgroup_id_y 0
		.amdhsa_system_sgpr_workgroup_id_z 1
		.amdhsa_system_sgpr_workgroup_info 0
		.amdhsa_system_vgpr_workitem_id 0
		.amdhsa_next_free_vgpr 10
		.amdhsa_next_free_sgpr 22
		.amdhsa_named_barrier_count 0
		.amdhsa_reserve_vcc 1
		.amdhsa_float_round_mode_32 0
		.amdhsa_float_round_mode_16_64 0
		.amdhsa_float_denorm_mode_32 3
		.amdhsa_float_denorm_mode_16_64 3
		.amdhsa_fp16_overflow 0
		.amdhsa_memory_ordered 1
		.amdhsa_forward_progress 1
		.amdhsa_inst_pref_size 3
		.amdhsa_round_robin_scheduling 0
		.amdhsa_exception_fp_ieee_invalid_op 0
		.amdhsa_exception_fp_denorm_src 0
		.amdhsa_exception_fp_ieee_div_zero 0
		.amdhsa_exception_fp_ieee_overflow 0
		.amdhsa_exception_fp_ieee_underflow 0
		.amdhsa_exception_fp_ieee_inexact 0
		.amdhsa_exception_int_div_zero 0
	.end_amdhsa_kernel
	.section	.text._ZL19rocblas_copy_kernelIiLi256EPK19rocblas_complex_numIdEPS1_EviT1_lT_lT2_lS6_li,"axG",@progbits,_ZL19rocblas_copy_kernelIiLi256EPK19rocblas_complex_numIdEPS1_EviT1_lT_lT2_lS6_li,comdat
.Lfunc_end5:
	.size	_ZL19rocblas_copy_kernelIiLi256EPK19rocblas_complex_numIdEPS1_EviT1_lT_lT2_lS6_li, .Lfunc_end5-_ZL19rocblas_copy_kernelIiLi256EPK19rocblas_complex_numIdEPS1_EviT1_lT_lT2_lS6_li
                                        ; -- End function
	.set _ZL19rocblas_copy_kernelIiLi256EPK19rocblas_complex_numIdEPS1_EviT1_lT_lT2_lS6_li.num_vgpr, 10
	.set _ZL19rocblas_copy_kernelIiLi256EPK19rocblas_complex_numIdEPS1_EviT1_lT_lT2_lS6_li.num_agpr, 0
	.set _ZL19rocblas_copy_kernelIiLi256EPK19rocblas_complex_numIdEPS1_EviT1_lT_lT2_lS6_li.numbered_sgpr, 22
	.set _ZL19rocblas_copy_kernelIiLi256EPK19rocblas_complex_numIdEPS1_EviT1_lT_lT2_lS6_li.num_named_barrier, 0
	.set _ZL19rocblas_copy_kernelIiLi256EPK19rocblas_complex_numIdEPS1_EviT1_lT_lT2_lS6_li.private_seg_size, 0
	.set _ZL19rocblas_copy_kernelIiLi256EPK19rocblas_complex_numIdEPS1_EviT1_lT_lT2_lS6_li.uses_vcc, 1
	.set _ZL19rocblas_copy_kernelIiLi256EPK19rocblas_complex_numIdEPS1_EviT1_lT_lT2_lS6_li.uses_flat_scratch, 0
	.set _ZL19rocblas_copy_kernelIiLi256EPK19rocblas_complex_numIdEPS1_EviT1_lT_lT2_lS6_li.has_dyn_sized_stack, 0
	.set _ZL19rocblas_copy_kernelIiLi256EPK19rocblas_complex_numIdEPS1_EviT1_lT_lT2_lS6_li.has_recursion, 0
	.set _ZL19rocblas_copy_kernelIiLi256EPK19rocblas_complex_numIdEPS1_EviT1_lT_lT2_lS6_li.has_indirect_call, 0
	.section	.AMDGPU.csdata,"",@progbits
; Kernel info:
; codeLenInByte = 356
; TotalNumSgprs: 24
; NumVgprs: 10
; ScratchSize: 0
; MemoryBound: 0
; FloatMode: 240
; IeeeMode: 1
; LDSByteSize: 0 bytes/workgroup (compile time only)
; SGPRBlocks: 0
; VGPRBlocks: 0
; NumSGPRsForWavesPerEU: 24
; NumVGPRsForWavesPerEU: 10
; NamedBarCnt: 0
; Occupancy: 16
; WaveLimiterHint : 0
; COMPUTE_PGM_RSRC2:SCRATCH_EN: 0
; COMPUTE_PGM_RSRC2:USER_SGPR: 2
; COMPUTE_PGM_RSRC2:TRAP_HANDLER: 0
; COMPUTE_PGM_RSRC2:TGID_X_EN: 1
; COMPUTE_PGM_RSRC2:TGID_Y_EN: 0
; COMPUTE_PGM_RSRC2:TGID_Z_EN: 1
; COMPUTE_PGM_RSRC2:TIDIG_COMP_CNT: 0
	.section	.text._ZL19rocblas_copy_kernelIiLi256EPKPKfPKPfEviT1_lT_lT2_lS8_li,"axG",@progbits,_ZL19rocblas_copy_kernelIiLi256EPKPKfPKPfEviT1_lT_lT2_lS8_li,comdat
	.globl	_ZL19rocblas_copy_kernelIiLi256EPKPKfPKPfEviT1_lT_lT2_lS8_li ; -- Begin function _ZL19rocblas_copy_kernelIiLi256EPKPKfPKPfEviT1_lT_lT2_lS8_li
	.p2align	8
	.type	_ZL19rocblas_copy_kernelIiLi256EPKPKfPKPfEviT1_lT_lT2_lS8_li,@function
_ZL19rocblas_copy_kernelIiLi256EPKPKfPKPfEviT1_lT_lT2_lS8_li: ; @_ZL19rocblas_copy_kernelIiLi256EPKPKfPKPfEviT1_lT_lT2_lS8_li
; %bb.0:
	s_load_b32 s12, s[0:1], 0x48
	s_bfe_u32 s2, ttmp6, 0x40014
	s_lshr_b32 s3, ttmp7, 16
	s_add_co_i32 s2, s2, 1
	s_bfe_u32 s5, ttmp6, 0x40008
	s_mul_i32 s4, s3, s2
	s_getreg_b32 s2, hwreg(HW_REG_IB_STS2, 6, 4)
	s_add_co_i32 s5, s5, s4
	s_cmp_eq_u32 s2, 0
	s_cselect_b32 s13, s3, s5
	s_wait_kmcnt 0x0
	s_cmp_ge_u32 s13, s12
	s_cbranch_scc1 .LBB6_5
; %bb.1:
	s_clause 0x2
	s_load_b32 s14, s[0:1], 0x0
	s_load_b32 s8, s[0:1], 0x18
	;; [unrolled: 1-line block ×3, first 2 shown]
	s_bfe_u32 s3, ttmp6, 0x4000c
	s_and_b32 s9, ttmp6, 15
	s_add_co_i32 s3, s3, 1
	v_mov_b32_e32 v5, 0
	s_mul_i32 s3, ttmp9, s3
	s_load_b128 s[4:7], s[0:1], 0x8
	s_add_co_i32 s3, s9, s3
	s_wait_kmcnt 0x0
	s_ashr_i32 s15, s14, 31
	s_ashr_i32 s9, s8, 31
	;; [unrolled: 1-line block ×3, first 2 shown]
	s_cmp_eq_u32 s2, 0
	s_cselect_b32 s2, ttmp9, s3
	s_delay_alu instid0(SALU_CYCLE_1) | instskip(NEXT) | instid1(VALU_DEP_1)
	v_lshl_or_b32 v4, s2, 8, v0
	v_mul_u64_e32 v[0:1], s[8:9], v[4:5]
	v_mul_u64_e32 v[2:3], s[10:11], v[4:5]
	s_load_b128 s[8:11], s[0:1], 0x28
	s_lshl_b64 s[2:3], s[6:7], 2
	v_cmp_gt_i64_e32 vcc_lo, s[14:15], v[4:5]
	s_wait_kmcnt 0x0
	s_lshl_b64 s[0:1], s[10:11], 2
	s_branch .LBB6_3
.LBB6_2:                                ;   in Loop: Header=BB6_3 Depth=1
	s_wait_xcnt 0x0
	s_or_b32 exec_lo, exec_lo, s6
	s_add_co_i32 s13, s13, 0x10000
	s_delay_alu instid0(SALU_CYCLE_1)
	s_cmp_lt_u32 s13, s12
	s_cbranch_scc0 .LBB6_5
.LBB6_3:                                ; =>This Inner Loop Header: Depth=1
	s_and_saveexec_b32 s6, vcc_lo
	s_cbranch_execz .LBB6_2
; %bb.4:                                ;   in Loop: Header=BB6_3 Depth=1
	s_load_b64 s[10:11], s[4:5], s13 offset:0x0 scale_offset
	s_wait_kmcnt 0x0
	s_add_nc_u64 s[10:11], s[10:11], s[2:3]
	s_delay_alu instid0(VALU_DEP_3) | instid1(SALU_CYCLE_1)
	v_lshl_add_u64 v[4:5], v[0:1], 2, s[10:11]
	s_load_b64 s[10:11], s[8:9], s13 offset:0x0 scale_offset
	flat_load_b32 v6, v[4:5]
	s_wait_kmcnt 0x0
	s_add_nc_u64 s[10:11], s[10:11], s[0:1]
	s_wait_xcnt 0x0
	v_lshl_add_u64 v[4:5], v[2:3], 2, s[10:11]
	s_wait_loadcnt_dscnt 0x0
	flat_store_b32 v[4:5], v6
	s_branch .LBB6_2
.LBB6_5:
	s_endpgm
	.section	.rodata,"a",@progbits
	.p2align	6, 0x0
	.amdhsa_kernel _ZL19rocblas_copy_kernelIiLi256EPKPKfPKPfEviT1_lT_lT2_lS8_li
		.amdhsa_group_segment_fixed_size 0
		.amdhsa_private_segment_fixed_size 0
		.amdhsa_kernarg_size 76
		.amdhsa_user_sgpr_count 2
		.amdhsa_user_sgpr_dispatch_ptr 0
		.amdhsa_user_sgpr_queue_ptr 0
		.amdhsa_user_sgpr_kernarg_segment_ptr 1
		.amdhsa_user_sgpr_dispatch_id 0
		.amdhsa_user_sgpr_kernarg_preload_length 0
		.amdhsa_user_sgpr_kernarg_preload_offset 0
		.amdhsa_user_sgpr_private_segment_size 0
		.amdhsa_wavefront_size32 1
		.amdhsa_uses_dynamic_stack 0
		.amdhsa_enable_private_segment 0
		.amdhsa_system_sgpr_workgroup_id_x 1
		.amdhsa_system_sgpr_workgroup_id_y 0
		.amdhsa_system_sgpr_workgroup_id_z 1
		.amdhsa_system_sgpr_workgroup_info 0
		.amdhsa_system_vgpr_workitem_id 0
		.amdhsa_next_free_vgpr 7
		.amdhsa_next_free_sgpr 16
		.amdhsa_named_barrier_count 0
		.amdhsa_reserve_vcc 1
		.amdhsa_float_round_mode_32 0
		.amdhsa_float_round_mode_16_64 0
		.amdhsa_float_denorm_mode_32 3
		.amdhsa_float_denorm_mode_16_64 3
		.amdhsa_fp16_overflow 0
		.amdhsa_memory_ordered 1
		.amdhsa_forward_progress 1
		.amdhsa_inst_pref_size 3
		.amdhsa_round_robin_scheduling 0
		.amdhsa_exception_fp_ieee_invalid_op 0
		.amdhsa_exception_fp_denorm_src 0
		.amdhsa_exception_fp_ieee_div_zero 0
		.amdhsa_exception_fp_ieee_overflow 0
		.amdhsa_exception_fp_ieee_underflow 0
		.amdhsa_exception_fp_ieee_inexact 0
		.amdhsa_exception_int_div_zero 0
	.end_amdhsa_kernel
	.section	.text._ZL19rocblas_copy_kernelIiLi256EPKPKfPKPfEviT1_lT_lT2_lS8_li,"axG",@progbits,_ZL19rocblas_copy_kernelIiLi256EPKPKfPKPfEviT1_lT_lT2_lS8_li,comdat
.Lfunc_end6:
	.size	_ZL19rocblas_copy_kernelIiLi256EPKPKfPKPfEviT1_lT_lT2_lS8_li, .Lfunc_end6-_ZL19rocblas_copy_kernelIiLi256EPKPKfPKPfEviT1_lT_lT2_lS8_li
                                        ; -- End function
	.set _ZL19rocblas_copy_kernelIiLi256EPKPKfPKPfEviT1_lT_lT2_lS8_li.num_vgpr, 7
	.set _ZL19rocblas_copy_kernelIiLi256EPKPKfPKPfEviT1_lT_lT2_lS8_li.num_agpr, 0
	.set _ZL19rocblas_copy_kernelIiLi256EPKPKfPKPfEviT1_lT_lT2_lS8_li.numbered_sgpr, 16
	.set _ZL19rocblas_copy_kernelIiLi256EPKPKfPKPfEviT1_lT_lT2_lS8_li.num_named_barrier, 0
	.set _ZL19rocblas_copy_kernelIiLi256EPKPKfPKPfEviT1_lT_lT2_lS8_li.private_seg_size, 0
	.set _ZL19rocblas_copy_kernelIiLi256EPKPKfPKPfEviT1_lT_lT2_lS8_li.uses_vcc, 1
	.set _ZL19rocblas_copy_kernelIiLi256EPKPKfPKPfEviT1_lT_lT2_lS8_li.uses_flat_scratch, 0
	.set _ZL19rocblas_copy_kernelIiLi256EPKPKfPKPfEviT1_lT_lT2_lS8_li.has_dyn_sized_stack, 0
	.set _ZL19rocblas_copy_kernelIiLi256EPKPKfPKPfEviT1_lT_lT2_lS8_li.has_recursion, 0
	.set _ZL19rocblas_copy_kernelIiLi256EPKPKfPKPfEviT1_lT_lT2_lS8_li.has_indirect_call, 0
	.section	.AMDGPU.csdata,"",@progbits
; Kernel info:
; codeLenInByte = 328
; TotalNumSgprs: 18
; NumVgprs: 7
; ScratchSize: 0
; MemoryBound: 0
; FloatMode: 240
; IeeeMode: 1
; LDSByteSize: 0 bytes/workgroup (compile time only)
; SGPRBlocks: 0
; VGPRBlocks: 0
; NumSGPRsForWavesPerEU: 18
; NumVGPRsForWavesPerEU: 7
; NamedBarCnt: 0
; Occupancy: 16
; WaveLimiterHint : 1
; COMPUTE_PGM_RSRC2:SCRATCH_EN: 0
; COMPUTE_PGM_RSRC2:USER_SGPR: 2
; COMPUTE_PGM_RSRC2:TRAP_HANDLER: 0
; COMPUTE_PGM_RSRC2:TGID_X_EN: 1
; COMPUTE_PGM_RSRC2:TGID_Y_EN: 0
; COMPUTE_PGM_RSRC2:TGID_Z_EN: 1
; COMPUTE_PGM_RSRC2:TIDIG_COMP_CNT: 0
	.section	.text._ZL22rocblas_scopy_2_kernelILi256EPKPKfPKPfEviT0_llT1_lli,"axG",@progbits,_ZL22rocblas_scopy_2_kernelILi256EPKPKfPKPfEviT0_llT1_lli,comdat
	.globl	_ZL22rocblas_scopy_2_kernelILi256EPKPKfPKPfEviT0_llT1_lli ; -- Begin function _ZL22rocblas_scopy_2_kernelILi256EPKPKfPKPfEviT0_llT1_lli
	.p2align	8
	.type	_ZL22rocblas_scopy_2_kernelILi256EPKPKfPKPfEviT0_llT1_lli,@function
_ZL22rocblas_scopy_2_kernelILi256EPKPKfPKPfEviT0_llT1_lli: ; @_ZL22rocblas_scopy_2_kernelILi256EPKPKfPKPfEviT0_llT1_lli
; %bb.0:
	s_load_b32 s12, s[0:1], 0x38
	s_bfe_u32 s2, ttmp6, 0x40014
	s_lshr_b32 s3, ttmp7, 16
	s_add_co_i32 s2, s2, 1
	s_bfe_u32 s5, ttmp6, 0x40008
	s_mul_i32 s4, s3, s2
	s_getreg_b32 s2, hwreg(HW_REG_IB_STS2, 6, 4)
	s_add_co_i32 s5, s5, s4
	s_cmp_eq_u32 s2, 0
	s_cselect_b32 s13, s3, s5
	s_wait_kmcnt 0x0
	s_cmp_ge_u32 s13, s12
	s_cbranch_scc1 .LBB7_7
; %bb.1:
	s_clause 0x1
	s_load_b32 s14, s[0:1], 0x0
	s_load_b128 s[4:7], s[0:1], 0x8
	s_bfe_u32 s3, ttmp6, 0x4000c
	s_load_b128 s[8:11], s[0:1], 0x20
	s_add_co_i32 s3, s3, 1
	s_wait_xcnt 0x0
	s_and_b32 s0, ttmp6, 15
	s_mul_i32 s1, ttmp9, s3
	v_dual_mov_b32 v3, 0 :: v_dual_lshlrev_b32 v0, 1, v0
	s_add_co_i32 s0, s0, s1
	s_cmp_eq_u32 s2, 0
	s_cselect_b32 s0, ttmp9, s0
	s_delay_alu instid0(VALU_DEP_1) | instid1(SALU_CYCLE_1)
	v_lshl_or_b32 v2, s0, 9, v0
	s_delay_alu instid0(VALU_DEP_1) | instskip(SKIP_2) | instid1(SALU_CYCLE_1)
	v_lshlrev_b64_e32 v[0:1], 2, v[2:3]
	s_wait_kmcnt 0x0
	s_add_co_i32 s2, s14, -1
	s_ashr_i32 s3, s2, 31
	s_bitcmp1_b32 s14, 0
	v_cmp_eq_u64_e64 s0, s[2:3], v[2:3]
	s_cselect_b32 s1, -1, 0
	v_cmp_gt_i64_e32 vcc_lo, s[2:3], v[2:3]
	s_lshl_b64 s[2:3], s[6:7], 2
	s_and_b32 s6, s1, s0
	s_lshl_b64 s[0:1], s[10:11], 2
	s_branch .LBB7_3
.LBB7_2:                                ;   in Loop: Header=BB7_3 Depth=1
	s_wait_xcnt 0x0
	s_or_b32 exec_lo, exec_lo, s7
	s_add_co_i32 s13, s13, 0x10000
	s_delay_alu instid0(SALU_CYCLE_1)
	s_cmp_lt_u32 s13, s12
	s_cbranch_scc0 .LBB7_7
.LBB7_3:                                ; =>This Inner Loop Header: Depth=1
	s_load_b64 s[10:11], s[4:5], s13 offset:0x0 scale_offset
	s_load_b64 s[14:15], s[8:9], s13 offset:0x0 scale_offset
	s_wait_kmcnt 0x0
	s_add_nc_u64 s[10:11], s[10:11], s[2:3]
	s_add_nc_u64 s[14:15], s[14:15], s[0:1]
	v_add_nc_u64_e32 v[2:3], s[10:11], v[0:1]
	v_add_nc_u64_e32 v[4:5], s[14:15], v[0:1]
	s_and_saveexec_b32 s7, vcc_lo
	s_cbranch_execnz .LBB7_5
; %bb.4:                                ;   in Loop: Header=BB7_3 Depth=1
	s_or_b32 exec_lo, exec_lo, s7
	s_and_saveexec_b32 s7, s6
	s_cbranch_execz .LBB7_2
	s_branch .LBB7_6
.LBB7_5:                                ;   in Loop: Header=BB7_3 Depth=1
	flat_load_b32 v6, v[2:3]
	s_wait_loadcnt_dscnt 0x0
	flat_store_b32 v[4:5], v6
	flat_load_b32 v6, v[2:3] offset:4
	s_wait_loadcnt_dscnt 0x0
	flat_store_b32 v[4:5], v6 offset:4
	s_wait_xcnt 0x0
	s_or_b32 exec_lo, exec_lo, s7
	s_and_saveexec_b32 s7, s6
	s_cbranch_execz .LBB7_2
.LBB7_6:                                ;   in Loop: Header=BB7_3 Depth=1
	flat_load_b32 v2, v[2:3]
	s_wait_loadcnt_dscnt 0x0
	flat_store_b32 v[4:5], v2
	s_branch .LBB7_2
.LBB7_7:
	s_endpgm
	.section	.rodata,"a",@progbits
	.p2align	6, 0x0
	.amdhsa_kernel _ZL22rocblas_scopy_2_kernelILi256EPKPKfPKPfEviT0_llT1_lli
		.amdhsa_group_segment_fixed_size 0
		.amdhsa_private_segment_fixed_size 0
		.amdhsa_kernarg_size 60
		.amdhsa_user_sgpr_count 2
		.amdhsa_user_sgpr_dispatch_ptr 0
		.amdhsa_user_sgpr_queue_ptr 0
		.amdhsa_user_sgpr_kernarg_segment_ptr 1
		.amdhsa_user_sgpr_dispatch_id 0
		.amdhsa_user_sgpr_kernarg_preload_length 0
		.amdhsa_user_sgpr_kernarg_preload_offset 0
		.amdhsa_user_sgpr_private_segment_size 0
		.amdhsa_wavefront_size32 1
		.amdhsa_uses_dynamic_stack 0
		.amdhsa_enable_private_segment 0
		.amdhsa_system_sgpr_workgroup_id_x 1
		.amdhsa_system_sgpr_workgroup_id_y 0
		.amdhsa_system_sgpr_workgroup_id_z 1
		.amdhsa_system_sgpr_workgroup_info 0
		.amdhsa_system_vgpr_workitem_id 0
		.amdhsa_next_free_vgpr 7
		.amdhsa_next_free_sgpr 16
		.amdhsa_named_barrier_count 0
		.amdhsa_reserve_vcc 1
		.amdhsa_float_round_mode_32 0
		.amdhsa_float_round_mode_16_64 0
		.amdhsa_float_denorm_mode_32 3
		.amdhsa_float_denorm_mode_16_64 3
		.amdhsa_fp16_overflow 0
		.amdhsa_memory_ordered 1
		.amdhsa_forward_progress 1
		.amdhsa_inst_pref_size 4
		.amdhsa_round_robin_scheduling 0
		.amdhsa_exception_fp_ieee_invalid_op 0
		.amdhsa_exception_fp_denorm_src 0
		.amdhsa_exception_fp_ieee_div_zero 0
		.amdhsa_exception_fp_ieee_overflow 0
		.amdhsa_exception_fp_ieee_underflow 0
		.amdhsa_exception_fp_ieee_inexact 0
		.amdhsa_exception_int_div_zero 0
	.end_amdhsa_kernel
	.section	.text._ZL22rocblas_scopy_2_kernelILi256EPKPKfPKPfEviT0_llT1_lli,"axG",@progbits,_ZL22rocblas_scopy_2_kernelILi256EPKPKfPKPfEviT0_llT1_lli,comdat
.Lfunc_end7:
	.size	_ZL22rocblas_scopy_2_kernelILi256EPKPKfPKPfEviT0_llT1_lli, .Lfunc_end7-_ZL22rocblas_scopy_2_kernelILi256EPKPKfPKPfEviT0_llT1_lli
                                        ; -- End function
	.set _ZL22rocblas_scopy_2_kernelILi256EPKPKfPKPfEviT0_llT1_lli.num_vgpr, 7
	.set _ZL22rocblas_scopy_2_kernelILi256EPKPKfPKPfEviT0_llT1_lli.num_agpr, 0
	.set _ZL22rocblas_scopy_2_kernelILi256EPKPKfPKPfEviT0_llT1_lli.numbered_sgpr, 16
	.set _ZL22rocblas_scopy_2_kernelILi256EPKPKfPKPfEviT0_llT1_lli.num_named_barrier, 0
	.set _ZL22rocblas_scopy_2_kernelILi256EPKPKfPKPfEviT0_llT1_lli.private_seg_size, 0
	.set _ZL22rocblas_scopy_2_kernelILi256EPKPKfPKPfEviT0_llT1_lli.uses_vcc, 1
	.set _ZL22rocblas_scopy_2_kernelILi256EPKPKfPKPfEviT0_llT1_lli.uses_flat_scratch, 0
	.set _ZL22rocblas_scopy_2_kernelILi256EPKPKfPKPfEviT0_llT1_lli.has_dyn_sized_stack, 0
	.set _ZL22rocblas_scopy_2_kernelILi256EPKPKfPKPfEviT0_llT1_lli.has_recursion, 0
	.set _ZL22rocblas_scopy_2_kernelILi256EPKPKfPKPfEviT0_llT1_lli.has_indirect_call, 0
	.section	.AMDGPU.csdata,"",@progbits
; Kernel info:
; codeLenInByte = 400
; TotalNumSgprs: 18
; NumVgprs: 7
; ScratchSize: 0
; MemoryBound: 0
; FloatMode: 240
; IeeeMode: 1
; LDSByteSize: 0 bytes/workgroup (compile time only)
; SGPRBlocks: 0
; VGPRBlocks: 0
; NumSGPRsForWavesPerEU: 18
; NumVGPRsForWavesPerEU: 7
; NamedBarCnt: 0
; Occupancy: 16
; WaveLimiterHint : 1
; COMPUTE_PGM_RSRC2:SCRATCH_EN: 0
; COMPUTE_PGM_RSRC2:USER_SGPR: 2
; COMPUTE_PGM_RSRC2:TRAP_HANDLER: 0
; COMPUTE_PGM_RSRC2:TGID_X_EN: 1
; COMPUTE_PGM_RSRC2:TGID_Y_EN: 0
; COMPUTE_PGM_RSRC2:TGID_Z_EN: 1
; COMPUTE_PGM_RSRC2:TIDIG_COMP_CNT: 0
	.section	.text._ZL19rocblas_copy_kernelIiLi256EPKPKdPKPdEviT1_lT_lT2_lS8_li,"axG",@progbits,_ZL19rocblas_copy_kernelIiLi256EPKPKdPKPdEviT1_lT_lT2_lS8_li,comdat
	.globl	_ZL19rocblas_copy_kernelIiLi256EPKPKdPKPdEviT1_lT_lT2_lS8_li ; -- Begin function _ZL19rocblas_copy_kernelIiLi256EPKPKdPKPdEviT1_lT_lT2_lS8_li
	.p2align	8
	.type	_ZL19rocblas_copy_kernelIiLi256EPKPKdPKPdEviT1_lT_lT2_lS8_li,@function
_ZL19rocblas_copy_kernelIiLi256EPKPKdPKPdEviT1_lT_lT2_lS8_li: ; @_ZL19rocblas_copy_kernelIiLi256EPKPKdPKPdEviT1_lT_lT2_lS8_li
; %bb.0:
	s_load_b32 s12, s[0:1], 0x48
	s_bfe_u32 s2, ttmp6, 0x40014
	s_lshr_b32 s3, ttmp7, 16
	s_add_co_i32 s2, s2, 1
	s_bfe_u32 s5, ttmp6, 0x40008
	s_mul_i32 s4, s3, s2
	s_getreg_b32 s2, hwreg(HW_REG_IB_STS2, 6, 4)
	s_add_co_i32 s5, s5, s4
	s_cmp_eq_u32 s2, 0
	s_cselect_b32 s13, s3, s5
	s_wait_kmcnt 0x0
	s_cmp_ge_u32 s13, s12
	s_cbranch_scc1 .LBB8_5
; %bb.1:
	s_clause 0x2
	s_load_b32 s14, s[0:1], 0x0
	s_load_b32 s8, s[0:1], 0x18
	s_load_b32 s10, s[0:1], 0x38
	s_bfe_u32 s3, ttmp6, 0x4000c
	s_and_b32 s9, ttmp6, 15
	s_add_co_i32 s3, s3, 1
	v_mov_b32_e32 v5, 0
	s_mul_i32 s3, ttmp9, s3
	s_load_b128 s[4:7], s[0:1], 0x8
	s_add_co_i32 s3, s9, s3
	s_wait_kmcnt 0x0
	s_ashr_i32 s15, s14, 31
	s_ashr_i32 s9, s8, 31
	;; [unrolled: 1-line block ×3, first 2 shown]
	s_cmp_eq_u32 s2, 0
	s_cselect_b32 s2, ttmp9, s3
	s_delay_alu instid0(SALU_CYCLE_1) | instskip(NEXT) | instid1(VALU_DEP_1)
	v_lshl_or_b32 v4, s2, 8, v0
	v_mul_u64_e32 v[0:1], s[8:9], v[4:5]
	v_mul_u64_e32 v[2:3], s[10:11], v[4:5]
	s_load_b128 s[8:11], s[0:1], 0x28
	s_lshl_b64 s[2:3], s[6:7], 3
	v_cmp_gt_i64_e32 vcc_lo, s[14:15], v[4:5]
	s_wait_kmcnt 0x0
	s_lshl_b64 s[0:1], s[10:11], 3
	s_branch .LBB8_3
.LBB8_2:                                ;   in Loop: Header=BB8_3 Depth=1
	s_wait_xcnt 0x0
	s_or_b32 exec_lo, exec_lo, s6
	s_add_co_i32 s13, s13, 0x10000
	s_delay_alu instid0(SALU_CYCLE_1)
	s_cmp_lt_u32 s13, s12
	s_cbranch_scc0 .LBB8_5
.LBB8_3:                                ; =>This Inner Loop Header: Depth=1
	s_and_saveexec_b32 s6, vcc_lo
	s_cbranch_execz .LBB8_2
; %bb.4:                                ;   in Loop: Header=BB8_3 Depth=1
	s_load_b64 s[10:11], s[4:5], s13 offset:0x0 scale_offset
	s_wait_kmcnt 0x0
	s_add_nc_u64 s[10:11], s[10:11], s[2:3]
	s_delay_alu instid0(VALU_DEP_3) | instid1(SALU_CYCLE_1)
	v_lshl_add_u64 v[4:5], v[0:1], 3, s[10:11]
	s_load_b64 s[10:11], s[8:9], s13 offset:0x0 scale_offset
	flat_load_b64 v[4:5], v[4:5]
	s_wait_kmcnt 0x0
	s_add_nc_u64 s[10:11], s[10:11], s[0:1]
	s_delay_alu instid0(SALU_CYCLE_1)
	v_lshl_add_u64 v[6:7], v[2:3], 3, s[10:11]
	s_wait_loadcnt_dscnt 0x0
	flat_store_b64 v[6:7], v[4:5]
	s_branch .LBB8_2
.LBB8_5:
	s_endpgm
	.section	.rodata,"a",@progbits
	.p2align	6, 0x0
	.amdhsa_kernel _ZL19rocblas_copy_kernelIiLi256EPKPKdPKPdEviT1_lT_lT2_lS8_li
		.amdhsa_group_segment_fixed_size 0
		.amdhsa_private_segment_fixed_size 0
		.amdhsa_kernarg_size 76
		.amdhsa_user_sgpr_count 2
		.amdhsa_user_sgpr_dispatch_ptr 0
		.amdhsa_user_sgpr_queue_ptr 0
		.amdhsa_user_sgpr_kernarg_segment_ptr 1
		.amdhsa_user_sgpr_dispatch_id 0
		.amdhsa_user_sgpr_kernarg_preload_length 0
		.amdhsa_user_sgpr_kernarg_preload_offset 0
		.amdhsa_user_sgpr_private_segment_size 0
		.amdhsa_wavefront_size32 1
		.amdhsa_uses_dynamic_stack 0
		.amdhsa_enable_private_segment 0
		.amdhsa_system_sgpr_workgroup_id_x 1
		.amdhsa_system_sgpr_workgroup_id_y 0
		.amdhsa_system_sgpr_workgroup_id_z 1
		.amdhsa_system_sgpr_workgroup_info 0
		.amdhsa_system_vgpr_workitem_id 0
		.amdhsa_next_free_vgpr 8
		.amdhsa_next_free_sgpr 16
		.amdhsa_named_barrier_count 0
		.amdhsa_reserve_vcc 1
		.amdhsa_float_round_mode_32 0
		.amdhsa_float_round_mode_16_64 0
		.amdhsa_float_denorm_mode_32 3
		.amdhsa_float_denorm_mode_16_64 3
		.amdhsa_fp16_overflow 0
		.amdhsa_memory_ordered 1
		.amdhsa_forward_progress 1
		.amdhsa_inst_pref_size 3
		.amdhsa_round_robin_scheduling 0
		.amdhsa_exception_fp_ieee_invalid_op 0
		.amdhsa_exception_fp_denorm_src 0
		.amdhsa_exception_fp_ieee_div_zero 0
		.amdhsa_exception_fp_ieee_overflow 0
		.amdhsa_exception_fp_ieee_underflow 0
		.amdhsa_exception_fp_ieee_inexact 0
		.amdhsa_exception_int_div_zero 0
	.end_amdhsa_kernel
	.section	.text._ZL19rocblas_copy_kernelIiLi256EPKPKdPKPdEviT1_lT_lT2_lS8_li,"axG",@progbits,_ZL19rocblas_copy_kernelIiLi256EPKPKdPKPdEviT1_lT_lT2_lS8_li,comdat
.Lfunc_end8:
	.size	_ZL19rocblas_copy_kernelIiLi256EPKPKdPKPdEviT1_lT_lT2_lS8_li, .Lfunc_end8-_ZL19rocblas_copy_kernelIiLi256EPKPKdPKPdEviT1_lT_lT2_lS8_li
                                        ; -- End function
	.set _ZL19rocblas_copy_kernelIiLi256EPKPKdPKPdEviT1_lT_lT2_lS8_li.num_vgpr, 8
	.set _ZL19rocblas_copy_kernelIiLi256EPKPKdPKPdEviT1_lT_lT2_lS8_li.num_agpr, 0
	.set _ZL19rocblas_copy_kernelIiLi256EPKPKdPKPdEviT1_lT_lT2_lS8_li.numbered_sgpr, 16
	.set _ZL19rocblas_copy_kernelIiLi256EPKPKdPKPdEviT1_lT_lT2_lS8_li.num_named_barrier, 0
	.set _ZL19rocblas_copy_kernelIiLi256EPKPKdPKPdEviT1_lT_lT2_lS8_li.private_seg_size, 0
	.set _ZL19rocblas_copy_kernelIiLi256EPKPKdPKPdEviT1_lT_lT2_lS8_li.uses_vcc, 1
	.set _ZL19rocblas_copy_kernelIiLi256EPKPKdPKPdEviT1_lT_lT2_lS8_li.uses_flat_scratch, 0
	.set _ZL19rocblas_copy_kernelIiLi256EPKPKdPKPdEviT1_lT_lT2_lS8_li.has_dyn_sized_stack, 0
	.set _ZL19rocblas_copy_kernelIiLi256EPKPKdPKPdEviT1_lT_lT2_lS8_li.has_recursion, 0
	.set _ZL19rocblas_copy_kernelIiLi256EPKPKdPKPdEviT1_lT_lT2_lS8_li.has_indirect_call, 0
	.section	.AMDGPU.csdata,"",@progbits
; Kernel info:
; codeLenInByte = 328
; TotalNumSgprs: 18
; NumVgprs: 8
; ScratchSize: 0
; MemoryBound: 0
; FloatMode: 240
; IeeeMode: 1
; LDSByteSize: 0 bytes/workgroup (compile time only)
; SGPRBlocks: 0
; VGPRBlocks: 0
; NumSGPRsForWavesPerEU: 18
; NumVGPRsForWavesPerEU: 8
; NamedBarCnt: 0
; Occupancy: 16
; WaveLimiterHint : 1
; COMPUTE_PGM_RSRC2:SCRATCH_EN: 0
; COMPUTE_PGM_RSRC2:USER_SGPR: 2
; COMPUTE_PGM_RSRC2:TRAP_HANDLER: 0
; COMPUTE_PGM_RSRC2:TGID_X_EN: 1
; COMPUTE_PGM_RSRC2:TGID_Y_EN: 0
; COMPUTE_PGM_RSRC2:TGID_Z_EN: 1
; COMPUTE_PGM_RSRC2:TIDIG_COMP_CNT: 0
	.section	.text._ZL19rocblas_copy_kernelIiLi256EPKPKDF16_PKPDF16_EviT1_lT_lT2_lS8_li,"axG",@progbits,_ZL19rocblas_copy_kernelIiLi256EPKPKDF16_PKPDF16_EviT1_lT_lT2_lS8_li,comdat
	.globl	_ZL19rocblas_copy_kernelIiLi256EPKPKDF16_PKPDF16_EviT1_lT_lT2_lS8_li ; -- Begin function _ZL19rocblas_copy_kernelIiLi256EPKPKDF16_PKPDF16_EviT1_lT_lT2_lS8_li
	.p2align	8
	.type	_ZL19rocblas_copy_kernelIiLi256EPKPKDF16_PKPDF16_EviT1_lT_lT2_lS8_li,@function
_ZL19rocblas_copy_kernelIiLi256EPKPKDF16_PKPDF16_EviT1_lT_lT2_lS8_li: ; @_ZL19rocblas_copy_kernelIiLi256EPKPKDF16_PKPDF16_EviT1_lT_lT2_lS8_li
; %bb.0:
	s_load_b32 s12, s[0:1], 0x48
	s_bfe_u32 s2, ttmp6, 0x40014
	s_lshr_b32 s3, ttmp7, 16
	s_add_co_i32 s2, s2, 1
	s_bfe_u32 s5, ttmp6, 0x40008
	s_mul_i32 s4, s3, s2
	s_getreg_b32 s2, hwreg(HW_REG_IB_STS2, 6, 4)
	s_add_co_i32 s5, s5, s4
	s_cmp_eq_u32 s2, 0
	s_cselect_b32 s13, s3, s5
	s_wait_kmcnt 0x0
	s_cmp_ge_u32 s13, s12
	s_cbranch_scc1 .LBB9_5
; %bb.1:
	s_clause 0x2
	s_load_b32 s14, s[0:1], 0x0
	s_load_b32 s8, s[0:1], 0x18
	;; [unrolled: 1-line block ×3, first 2 shown]
	s_bfe_u32 s3, ttmp6, 0x4000c
	s_and_b32 s9, ttmp6, 15
	s_add_co_i32 s3, s3, 1
	v_mov_b32_e32 v5, 0
	s_mul_i32 s3, ttmp9, s3
	s_load_b128 s[4:7], s[0:1], 0x8
	s_add_co_i32 s3, s9, s3
	s_wait_kmcnt 0x0
	s_ashr_i32 s15, s14, 31
	s_ashr_i32 s9, s8, 31
	s_ashr_i32 s11, s10, 31
	s_cmp_eq_u32 s2, 0
	s_cselect_b32 s2, ttmp9, s3
	s_delay_alu instid0(SALU_CYCLE_1) | instskip(NEXT) | instid1(VALU_DEP_1)
	v_lshl_or_b32 v4, s2, 8, v0
	v_mul_u64_e32 v[0:1], s[8:9], v[4:5]
	v_mul_u64_e32 v[2:3], s[10:11], v[4:5]
	s_load_b128 s[8:11], s[0:1], 0x28
	s_lshl_b64 s[2:3], s[6:7], 1
	v_cmp_gt_i64_e32 vcc_lo, s[14:15], v[4:5]
	s_wait_kmcnt 0x0
	s_lshl_b64 s[0:1], s[10:11], 1
	s_branch .LBB9_3
.LBB9_2:                                ;   in Loop: Header=BB9_3 Depth=1
	s_wait_xcnt 0x0
	s_or_b32 exec_lo, exec_lo, s6
	s_add_co_i32 s13, s13, 0x10000
	s_delay_alu instid0(SALU_CYCLE_1)
	s_cmp_lt_u32 s13, s12
	s_cbranch_scc0 .LBB9_5
.LBB9_3:                                ; =>This Inner Loop Header: Depth=1
	s_and_saveexec_b32 s6, vcc_lo
	s_cbranch_execz .LBB9_2
; %bb.4:                                ;   in Loop: Header=BB9_3 Depth=1
	s_load_b64 s[10:11], s[4:5], s13 offset:0x0 scale_offset
	s_wait_kmcnt 0x0
	s_add_nc_u64 s[10:11], s[10:11], s[2:3]
	s_delay_alu instid0(VALU_DEP_3) | instid1(SALU_CYCLE_1)
	v_lshl_add_u64 v[4:5], v[0:1], 1, s[10:11]
	s_load_b64 s[10:11], s[8:9], s13 offset:0x0 scale_offset
	flat_load_u16 v6, v[4:5]
	s_wait_kmcnt 0x0
	s_add_nc_u64 s[10:11], s[10:11], s[0:1]
	s_wait_xcnt 0x0
	v_lshl_add_u64 v[4:5], v[2:3], 1, s[10:11]
	s_wait_loadcnt_dscnt 0x0
	flat_store_b16 v[4:5], v6
	s_branch .LBB9_2
.LBB9_5:
	s_endpgm
	.section	.rodata,"a",@progbits
	.p2align	6, 0x0
	.amdhsa_kernel _ZL19rocblas_copy_kernelIiLi256EPKPKDF16_PKPDF16_EviT1_lT_lT2_lS8_li
		.amdhsa_group_segment_fixed_size 0
		.amdhsa_private_segment_fixed_size 0
		.amdhsa_kernarg_size 76
		.amdhsa_user_sgpr_count 2
		.amdhsa_user_sgpr_dispatch_ptr 0
		.amdhsa_user_sgpr_queue_ptr 0
		.amdhsa_user_sgpr_kernarg_segment_ptr 1
		.amdhsa_user_sgpr_dispatch_id 0
		.amdhsa_user_sgpr_kernarg_preload_length 0
		.amdhsa_user_sgpr_kernarg_preload_offset 0
		.amdhsa_user_sgpr_private_segment_size 0
		.amdhsa_wavefront_size32 1
		.amdhsa_uses_dynamic_stack 0
		.amdhsa_enable_private_segment 0
		.amdhsa_system_sgpr_workgroup_id_x 1
		.amdhsa_system_sgpr_workgroup_id_y 0
		.amdhsa_system_sgpr_workgroup_id_z 1
		.amdhsa_system_sgpr_workgroup_info 0
		.amdhsa_system_vgpr_workitem_id 0
		.amdhsa_next_free_vgpr 7
		.amdhsa_next_free_sgpr 16
		.amdhsa_named_barrier_count 0
		.amdhsa_reserve_vcc 1
		.amdhsa_float_round_mode_32 0
		.amdhsa_float_round_mode_16_64 0
		.amdhsa_float_denorm_mode_32 3
		.amdhsa_float_denorm_mode_16_64 3
		.amdhsa_fp16_overflow 0
		.amdhsa_memory_ordered 1
		.amdhsa_forward_progress 1
		.amdhsa_inst_pref_size 3
		.amdhsa_round_robin_scheduling 0
		.amdhsa_exception_fp_ieee_invalid_op 0
		.amdhsa_exception_fp_denorm_src 0
		.amdhsa_exception_fp_ieee_div_zero 0
		.amdhsa_exception_fp_ieee_overflow 0
		.amdhsa_exception_fp_ieee_underflow 0
		.amdhsa_exception_fp_ieee_inexact 0
		.amdhsa_exception_int_div_zero 0
	.end_amdhsa_kernel
	.section	.text._ZL19rocblas_copy_kernelIiLi256EPKPKDF16_PKPDF16_EviT1_lT_lT2_lS8_li,"axG",@progbits,_ZL19rocblas_copy_kernelIiLi256EPKPKDF16_PKPDF16_EviT1_lT_lT2_lS8_li,comdat
.Lfunc_end9:
	.size	_ZL19rocblas_copy_kernelIiLi256EPKPKDF16_PKPDF16_EviT1_lT_lT2_lS8_li, .Lfunc_end9-_ZL19rocblas_copy_kernelIiLi256EPKPKDF16_PKPDF16_EviT1_lT_lT2_lS8_li
                                        ; -- End function
	.set _ZL19rocblas_copy_kernelIiLi256EPKPKDF16_PKPDF16_EviT1_lT_lT2_lS8_li.num_vgpr, 7
	.set _ZL19rocblas_copy_kernelIiLi256EPKPKDF16_PKPDF16_EviT1_lT_lT2_lS8_li.num_agpr, 0
	.set _ZL19rocblas_copy_kernelIiLi256EPKPKDF16_PKPDF16_EviT1_lT_lT2_lS8_li.numbered_sgpr, 16
	.set _ZL19rocblas_copy_kernelIiLi256EPKPKDF16_PKPDF16_EviT1_lT_lT2_lS8_li.num_named_barrier, 0
	.set _ZL19rocblas_copy_kernelIiLi256EPKPKDF16_PKPDF16_EviT1_lT_lT2_lS8_li.private_seg_size, 0
	.set _ZL19rocblas_copy_kernelIiLi256EPKPKDF16_PKPDF16_EviT1_lT_lT2_lS8_li.uses_vcc, 1
	.set _ZL19rocblas_copy_kernelIiLi256EPKPKDF16_PKPDF16_EviT1_lT_lT2_lS8_li.uses_flat_scratch, 0
	.set _ZL19rocblas_copy_kernelIiLi256EPKPKDF16_PKPDF16_EviT1_lT_lT2_lS8_li.has_dyn_sized_stack, 0
	.set _ZL19rocblas_copy_kernelIiLi256EPKPKDF16_PKPDF16_EviT1_lT_lT2_lS8_li.has_recursion, 0
	.set _ZL19rocblas_copy_kernelIiLi256EPKPKDF16_PKPDF16_EviT1_lT_lT2_lS8_li.has_indirect_call, 0
	.section	.AMDGPU.csdata,"",@progbits
; Kernel info:
; codeLenInByte = 328
; TotalNumSgprs: 18
; NumVgprs: 7
; ScratchSize: 0
; MemoryBound: 0
; FloatMode: 240
; IeeeMode: 1
; LDSByteSize: 0 bytes/workgroup (compile time only)
; SGPRBlocks: 0
; VGPRBlocks: 0
; NumSGPRsForWavesPerEU: 18
; NumVGPRsForWavesPerEU: 7
; NamedBarCnt: 0
; Occupancy: 16
; WaveLimiterHint : 1
; COMPUTE_PGM_RSRC2:SCRATCH_EN: 0
; COMPUTE_PGM_RSRC2:USER_SGPR: 2
; COMPUTE_PGM_RSRC2:TRAP_HANDLER: 0
; COMPUTE_PGM_RSRC2:TGID_X_EN: 1
; COMPUTE_PGM_RSRC2:TGID_Y_EN: 0
; COMPUTE_PGM_RSRC2:TGID_Z_EN: 1
; COMPUTE_PGM_RSRC2:TIDIG_COMP_CNT: 0
	.section	.text._ZL19rocblas_copy_kernelIiLi256EPKPK19rocblas_complex_numIfEPKPS1_EviT1_lT_lT2_lSA_li,"axG",@progbits,_ZL19rocblas_copy_kernelIiLi256EPKPK19rocblas_complex_numIfEPKPS1_EviT1_lT_lT2_lSA_li,comdat
	.globl	_ZL19rocblas_copy_kernelIiLi256EPKPK19rocblas_complex_numIfEPKPS1_EviT1_lT_lT2_lSA_li ; -- Begin function _ZL19rocblas_copy_kernelIiLi256EPKPK19rocblas_complex_numIfEPKPS1_EviT1_lT_lT2_lSA_li
	.p2align	8
	.type	_ZL19rocblas_copy_kernelIiLi256EPKPK19rocblas_complex_numIfEPKPS1_EviT1_lT_lT2_lSA_li,@function
_ZL19rocblas_copy_kernelIiLi256EPKPK19rocblas_complex_numIfEPKPS1_EviT1_lT_lT2_lSA_li: ; @_ZL19rocblas_copy_kernelIiLi256EPKPK19rocblas_complex_numIfEPKPS1_EviT1_lT_lT2_lSA_li
; %bb.0:
	s_load_b32 s12, s[0:1], 0x48
	s_bfe_u32 s2, ttmp6, 0x40014
	s_lshr_b32 s3, ttmp7, 16
	s_add_co_i32 s2, s2, 1
	s_bfe_u32 s5, ttmp6, 0x40008
	s_mul_i32 s4, s3, s2
	s_getreg_b32 s2, hwreg(HW_REG_IB_STS2, 6, 4)
	s_add_co_i32 s5, s5, s4
	s_cmp_eq_u32 s2, 0
	s_cselect_b32 s13, s3, s5
	s_wait_kmcnt 0x0
	s_cmp_ge_u32 s13, s12
	s_cbranch_scc1 .LBB10_5
; %bb.1:
	s_clause 0x2
	s_load_b32 s14, s[0:1], 0x0
	s_load_b32 s8, s[0:1], 0x18
	;; [unrolled: 1-line block ×3, first 2 shown]
	s_bfe_u32 s3, ttmp6, 0x4000c
	s_and_b32 s9, ttmp6, 15
	s_add_co_i32 s3, s3, 1
	v_mov_b32_e32 v5, 0
	s_mul_i32 s3, ttmp9, s3
	s_load_b128 s[4:7], s[0:1], 0x8
	s_add_co_i32 s3, s9, s3
	s_wait_kmcnt 0x0
	s_ashr_i32 s15, s14, 31
	s_ashr_i32 s9, s8, 31
	;; [unrolled: 1-line block ×3, first 2 shown]
	s_cmp_eq_u32 s2, 0
	s_cselect_b32 s2, ttmp9, s3
	s_delay_alu instid0(SALU_CYCLE_1) | instskip(NEXT) | instid1(VALU_DEP_1)
	v_lshl_or_b32 v4, s2, 8, v0
	v_mul_u64_e32 v[0:1], s[8:9], v[4:5]
	v_mul_u64_e32 v[2:3], s[10:11], v[4:5]
	s_load_b128 s[8:11], s[0:1], 0x28
	s_lshl_b64 s[2:3], s[6:7], 3
	v_cmp_gt_i64_e32 vcc_lo, s[14:15], v[4:5]
	s_wait_kmcnt 0x0
	s_lshl_b64 s[0:1], s[10:11], 3
	s_branch .LBB10_3
.LBB10_2:                               ;   in Loop: Header=BB10_3 Depth=1
	s_wait_xcnt 0x0
	s_or_b32 exec_lo, exec_lo, s6
	s_add_co_i32 s13, s13, 0x10000
	s_delay_alu instid0(SALU_CYCLE_1)
	s_cmp_lt_u32 s13, s12
	s_cbranch_scc0 .LBB10_5
.LBB10_3:                               ; =>This Inner Loop Header: Depth=1
	s_and_saveexec_b32 s6, vcc_lo
	s_cbranch_execz .LBB10_2
; %bb.4:                                ;   in Loop: Header=BB10_3 Depth=1
	v_mov_b32_e32 v8, s13
	s_clause 0x1
	global_load_b64 v[4:5], v8, s[4:5] scale_offset
	global_load_b64 v[6:7], v8, s[8:9] scale_offset
	s_wait_loadcnt 0x1
	v_add_nc_u64_e32 v[4:5], s[2:3], v[4:5]
	s_wait_loadcnt 0x0
	v_add_nc_u64_e32 v[6:7], s[0:1], v[6:7]
	s_delay_alu instid0(VALU_DEP_2) | instskip(NEXT) | instid1(VALU_DEP_2)
	v_lshl_add_u64 v[4:5], v[0:1], 3, v[4:5]
	v_lshl_add_u64 v[6:7], v[2:3], 3, v[6:7]
	flat_load_b64 v[4:5], v[4:5]
	s_wait_loadcnt_dscnt 0x0
	flat_store_b64 v[6:7], v[4:5]
	s_branch .LBB10_2
.LBB10_5:
	s_endpgm
	.section	.rodata,"a",@progbits
	.p2align	6, 0x0
	.amdhsa_kernel _ZL19rocblas_copy_kernelIiLi256EPKPK19rocblas_complex_numIfEPKPS1_EviT1_lT_lT2_lSA_li
		.amdhsa_group_segment_fixed_size 0
		.amdhsa_private_segment_fixed_size 0
		.amdhsa_kernarg_size 76
		.amdhsa_user_sgpr_count 2
		.amdhsa_user_sgpr_dispatch_ptr 0
		.amdhsa_user_sgpr_queue_ptr 0
		.amdhsa_user_sgpr_kernarg_segment_ptr 1
		.amdhsa_user_sgpr_dispatch_id 0
		.amdhsa_user_sgpr_kernarg_preload_length 0
		.amdhsa_user_sgpr_kernarg_preload_offset 0
		.amdhsa_user_sgpr_private_segment_size 0
		.amdhsa_wavefront_size32 1
		.amdhsa_uses_dynamic_stack 0
		.amdhsa_enable_private_segment 0
		.amdhsa_system_sgpr_workgroup_id_x 1
		.amdhsa_system_sgpr_workgroup_id_y 0
		.amdhsa_system_sgpr_workgroup_id_z 1
		.amdhsa_system_sgpr_workgroup_info 0
		.amdhsa_system_vgpr_workitem_id 0
		.amdhsa_next_free_vgpr 9
		.amdhsa_next_free_sgpr 16
		.amdhsa_named_barrier_count 0
		.amdhsa_reserve_vcc 1
		.amdhsa_float_round_mode_32 0
		.amdhsa_float_round_mode_16_64 0
		.amdhsa_float_denorm_mode_32 3
		.amdhsa_float_denorm_mode_16_64 3
		.amdhsa_fp16_overflow 0
		.amdhsa_memory_ordered 1
		.amdhsa_forward_progress 1
		.amdhsa_inst_pref_size 3
		.amdhsa_round_robin_scheduling 0
		.amdhsa_exception_fp_ieee_invalid_op 0
		.amdhsa_exception_fp_denorm_src 0
		.amdhsa_exception_fp_ieee_div_zero 0
		.amdhsa_exception_fp_ieee_overflow 0
		.amdhsa_exception_fp_ieee_underflow 0
		.amdhsa_exception_fp_ieee_inexact 0
		.amdhsa_exception_int_div_zero 0
	.end_amdhsa_kernel
	.section	.text._ZL19rocblas_copy_kernelIiLi256EPKPK19rocblas_complex_numIfEPKPS1_EviT1_lT_lT2_lSA_li,"axG",@progbits,_ZL19rocblas_copy_kernelIiLi256EPKPK19rocblas_complex_numIfEPKPS1_EviT1_lT_lT2_lSA_li,comdat
.Lfunc_end10:
	.size	_ZL19rocblas_copy_kernelIiLi256EPKPK19rocblas_complex_numIfEPKPS1_EviT1_lT_lT2_lSA_li, .Lfunc_end10-_ZL19rocblas_copy_kernelIiLi256EPKPK19rocblas_complex_numIfEPKPS1_EviT1_lT_lT2_lSA_li
                                        ; -- End function
	.set _ZL19rocblas_copy_kernelIiLi256EPKPK19rocblas_complex_numIfEPKPS1_EviT1_lT_lT2_lSA_li.num_vgpr, 9
	.set _ZL19rocblas_copy_kernelIiLi256EPKPK19rocblas_complex_numIfEPKPS1_EviT1_lT_lT2_lSA_li.num_agpr, 0
	.set _ZL19rocblas_copy_kernelIiLi256EPKPK19rocblas_complex_numIfEPKPS1_EviT1_lT_lT2_lSA_li.numbered_sgpr, 16
	.set _ZL19rocblas_copy_kernelIiLi256EPKPK19rocblas_complex_numIfEPKPS1_EviT1_lT_lT2_lSA_li.num_named_barrier, 0
	.set _ZL19rocblas_copy_kernelIiLi256EPKPK19rocblas_complex_numIfEPKPS1_EviT1_lT_lT2_lSA_li.private_seg_size, 0
	.set _ZL19rocblas_copy_kernelIiLi256EPKPK19rocblas_complex_numIfEPKPS1_EviT1_lT_lT2_lSA_li.uses_vcc, 1
	.set _ZL19rocblas_copy_kernelIiLi256EPKPK19rocblas_complex_numIfEPKPS1_EviT1_lT_lT2_lSA_li.uses_flat_scratch, 0
	.set _ZL19rocblas_copy_kernelIiLi256EPKPK19rocblas_complex_numIfEPKPS1_EviT1_lT_lT2_lSA_li.has_dyn_sized_stack, 0
	.set _ZL19rocblas_copy_kernelIiLi256EPKPK19rocblas_complex_numIfEPKPS1_EviT1_lT_lT2_lSA_li.has_recursion, 0
	.set _ZL19rocblas_copy_kernelIiLi256EPKPK19rocblas_complex_numIfEPKPS1_EviT1_lT_lT2_lSA_li.has_indirect_call, 0
	.section	.AMDGPU.csdata,"",@progbits
; Kernel info:
; codeLenInByte = 340
; TotalNumSgprs: 18
; NumVgprs: 9
; ScratchSize: 0
; MemoryBound: 0
; FloatMode: 240
; IeeeMode: 1
; LDSByteSize: 0 bytes/workgroup (compile time only)
; SGPRBlocks: 0
; VGPRBlocks: 0
; NumSGPRsForWavesPerEU: 18
; NumVGPRsForWavesPerEU: 9
; NamedBarCnt: 0
; Occupancy: 16
; WaveLimiterHint : 1
; COMPUTE_PGM_RSRC2:SCRATCH_EN: 0
; COMPUTE_PGM_RSRC2:USER_SGPR: 2
; COMPUTE_PGM_RSRC2:TRAP_HANDLER: 0
; COMPUTE_PGM_RSRC2:TGID_X_EN: 1
; COMPUTE_PGM_RSRC2:TGID_Y_EN: 0
; COMPUTE_PGM_RSRC2:TGID_Z_EN: 1
; COMPUTE_PGM_RSRC2:TIDIG_COMP_CNT: 0
	.section	.text._ZL19rocblas_copy_kernelIiLi256EPKPK19rocblas_complex_numIdEPKPS1_EviT1_lT_lT2_lSA_li,"axG",@progbits,_ZL19rocblas_copy_kernelIiLi256EPKPK19rocblas_complex_numIdEPKPS1_EviT1_lT_lT2_lSA_li,comdat
	.globl	_ZL19rocblas_copy_kernelIiLi256EPKPK19rocblas_complex_numIdEPKPS1_EviT1_lT_lT2_lSA_li ; -- Begin function _ZL19rocblas_copy_kernelIiLi256EPKPK19rocblas_complex_numIdEPKPS1_EviT1_lT_lT2_lSA_li
	.p2align	8
	.type	_ZL19rocblas_copy_kernelIiLi256EPKPK19rocblas_complex_numIdEPKPS1_EviT1_lT_lT2_lSA_li,@function
_ZL19rocblas_copy_kernelIiLi256EPKPK19rocblas_complex_numIdEPKPS1_EviT1_lT_lT2_lSA_li: ; @_ZL19rocblas_copy_kernelIiLi256EPKPK19rocblas_complex_numIdEPKPS1_EviT1_lT_lT2_lSA_li
; %bb.0:
	s_load_b32 s12, s[0:1], 0x48
	s_bfe_u32 s2, ttmp6, 0x40014
	s_lshr_b32 s3, ttmp7, 16
	s_add_co_i32 s2, s2, 1
	s_bfe_u32 s5, ttmp6, 0x40008
	s_mul_i32 s4, s3, s2
	s_getreg_b32 s2, hwreg(HW_REG_IB_STS2, 6, 4)
	s_add_co_i32 s5, s5, s4
	s_cmp_eq_u32 s2, 0
	s_cselect_b32 s13, s3, s5
	s_wait_kmcnt 0x0
	s_cmp_ge_u32 s13, s12
	s_cbranch_scc1 .LBB11_5
; %bb.1:
	s_clause 0x2
	s_load_b32 s14, s[0:1], 0x0
	s_load_b32 s8, s[0:1], 0x18
	;; [unrolled: 1-line block ×3, first 2 shown]
	s_bfe_u32 s3, ttmp6, 0x4000c
	s_and_b32 s9, ttmp6, 15
	s_add_co_i32 s3, s3, 1
	v_mov_b32_e32 v5, 0
	s_mul_i32 s3, ttmp9, s3
	s_load_b128 s[4:7], s[0:1], 0x8
	s_add_co_i32 s3, s9, s3
	s_wait_kmcnt 0x0
	s_ashr_i32 s15, s14, 31
	s_ashr_i32 s9, s8, 31
	;; [unrolled: 1-line block ×3, first 2 shown]
	s_cmp_eq_u32 s2, 0
	s_cselect_b32 s2, ttmp9, s3
	s_delay_alu instid0(SALU_CYCLE_1) | instskip(NEXT) | instid1(VALU_DEP_1)
	v_lshl_or_b32 v4, s2, 8, v0
	v_mul_u64_e32 v[0:1], s[8:9], v[4:5]
	v_mul_u64_e32 v[2:3], s[10:11], v[4:5]
	s_load_b128 s[8:11], s[0:1], 0x28
	s_lshl_b64 s[2:3], s[6:7], 4
	v_cmp_gt_i64_e32 vcc_lo, s[14:15], v[4:5]
	s_wait_kmcnt 0x0
	s_lshl_b64 s[0:1], s[10:11], 4
	s_branch .LBB11_3
.LBB11_2:                               ;   in Loop: Header=BB11_3 Depth=1
	s_wait_xcnt 0x0
	s_or_b32 exec_lo, exec_lo, s6
	s_add_co_i32 s13, s13, 0x10000
	s_delay_alu instid0(SALU_CYCLE_1)
	s_cmp_lt_u32 s13, s12
	s_cbranch_scc0 .LBB11_5
.LBB11_3:                               ; =>This Inner Loop Header: Depth=1
	s_and_saveexec_b32 s6, vcc_lo
	s_cbranch_execz .LBB11_2
; %bb.4:                                ;   in Loop: Header=BB11_3 Depth=1
	v_mov_b32_e32 v6, s13
	s_clause 0x1
	global_load_b64 v[4:5], v6, s[4:5] scale_offset
	global_load_b64 v[8:9], v6, s[8:9] scale_offset
	s_wait_loadcnt 0x1
	v_add_nc_u64_e32 v[4:5], s[2:3], v[4:5]
	s_wait_loadcnt 0x0
	v_add_nc_u64_e32 v[8:9], s[0:1], v[8:9]
	s_delay_alu instid0(VALU_DEP_2) | instskip(NEXT) | instid1(VALU_DEP_2)
	v_lshl_add_u64 v[4:5], v[0:1], 4, v[4:5]
	v_lshl_add_u64 v[8:9], v[2:3], 4, v[8:9]
	flat_load_b128 v[4:7], v[4:5]
	s_wait_loadcnt_dscnt 0x0
	flat_store_b128 v[8:9], v[4:7]
	s_branch .LBB11_2
.LBB11_5:
	s_endpgm
	.section	.rodata,"a",@progbits
	.p2align	6, 0x0
	.amdhsa_kernel _ZL19rocblas_copy_kernelIiLi256EPKPK19rocblas_complex_numIdEPKPS1_EviT1_lT_lT2_lSA_li
		.amdhsa_group_segment_fixed_size 0
		.amdhsa_private_segment_fixed_size 0
		.amdhsa_kernarg_size 76
		.amdhsa_user_sgpr_count 2
		.amdhsa_user_sgpr_dispatch_ptr 0
		.amdhsa_user_sgpr_queue_ptr 0
		.amdhsa_user_sgpr_kernarg_segment_ptr 1
		.amdhsa_user_sgpr_dispatch_id 0
		.amdhsa_user_sgpr_kernarg_preload_length 0
		.amdhsa_user_sgpr_kernarg_preload_offset 0
		.amdhsa_user_sgpr_private_segment_size 0
		.amdhsa_wavefront_size32 1
		.amdhsa_uses_dynamic_stack 0
		.amdhsa_enable_private_segment 0
		.amdhsa_system_sgpr_workgroup_id_x 1
		.amdhsa_system_sgpr_workgroup_id_y 0
		.amdhsa_system_sgpr_workgroup_id_z 1
		.amdhsa_system_sgpr_workgroup_info 0
		.amdhsa_system_vgpr_workitem_id 0
		.amdhsa_next_free_vgpr 10
		.amdhsa_next_free_sgpr 16
		.amdhsa_named_barrier_count 0
		.amdhsa_reserve_vcc 1
		.amdhsa_float_round_mode_32 0
		.amdhsa_float_round_mode_16_64 0
		.amdhsa_float_denorm_mode_32 3
		.amdhsa_float_denorm_mode_16_64 3
		.amdhsa_fp16_overflow 0
		.amdhsa_memory_ordered 1
		.amdhsa_forward_progress 1
		.amdhsa_inst_pref_size 3
		.amdhsa_round_robin_scheduling 0
		.amdhsa_exception_fp_ieee_invalid_op 0
		.amdhsa_exception_fp_denorm_src 0
		.amdhsa_exception_fp_ieee_div_zero 0
		.amdhsa_exception_fp_ieee_overflow 0
		.amdhsa_exception_fp_ieee_underflow 0
		.amdhsa_exception_fp_ieee_inexact 0
		.amdhsa_exception_int_div_zero 0
	.end_amdhsa_kernel
	.section	.text._ZL19rocblas_copy_kernelIiLi256EPKPK19rocblas_complex_numIdEPKPS1_EviT1_lT_lT2_lSA_li,"axG",@progbits,_ZL19rocblas_copy_kernelIiLi256EPKPK19rocblas_complex_numIdEPKPS1_EviT1_lT_lT2_lSA_li,comdat
.Lfunc_end11:
	.size	_ZL19rocblas_copy_kernelIiLi256EPKPK19rocblas_complex_numIdEPKPS1_EviT1_lT_lT2_lSA_li, .Lfunc_end11-_ZL19rocblas_copy_kernelIiLi256EPKPK19rocblas_complex_numIdEPKPS1_EviT1_lT_lT2_lSA_li
                                        ; -- End function
	.set _ZL19rocblas_copy_kernelIiLi256EPKPK19rocblas_complex_numIdEPKPS1_EviT1_lT_lT2_lSA_li.num_vgpr, 10
	.set _ZL19rocblas_copy_kernelIiLi256EPKPK19rocblas_complex_numIdEPKPS1_EviT1_lT_lT2_lSA_li.num_agpr, 0
	.set _ZL19rocblas_copy_kernelIiLi256EPKPK19rocblas_complex_numIdEPKPS1_EviT1_lT_lT2_lSA_li.numbered_sgpr, 16
	.set _ZL19rocblas_copy_kernelIiLi256EPKPK19rocblas_complex_numIdEPKPS1_EviT1_lT_lT2_lSA_li.num_named_barrier, 0
	.set _ZL19rocblas_copy_kernelIiLi256EPKPK19rocblas_complex_numIdEPKPS1_EviT1_lT_lT2_lSA_li.private_seg_size, 0
	.set _ZL19rocblas_copy_kernelIiLi256EPKPK19rocblas_complex_numIdEPKPS1_EviT1_lT_lT2_lSA_li.uses_vcc, 1
	.set _ZL19rocblas_copy_kernelIiLi256EPKPK19rocblas_complex_numIdEPKPS1_EviT1_lT_lT2_lSA_li.uses_flat_scratch, 0
	.set _ZL19rocblas_copy_kernelIiLi256EPKPK19rocblas_complex_numIdEPKPS1_EviT1_lT_lT2_lSA_li.has_dyn_sized_stack, 0
	.set _ZL19rocblas_copy_kernelIiLi256EPKPK19rocblas_complex_numIdEPKPS1_EviT1_lT_lT2_lSA_li.has_recursion, 0
	.set _ZL19rocblas_copy_kernelIiLi256EPKPK19rocblas_complex_numIdEPKPS1_EviT1_lT_lT2_lSA_li.has_indirect_call, 0
	.section	.AMDGPU.csdata,"",@progbits
; Kernel info:
; codeLenInByte = 340
; TotalNumSgprs: 18
; NumVgprs: 10
; ScratchSize: 0
; MemoryBound: 0
; FloatMode: 240
; IeeeMode: 1
; LDSByteSize: 0 bytes/workgroup (compile time only)
; SGPRBlocks: 0
; VGPRBlocks: 0
; NumSGPRsForWavesPerEU: 18
; NumVGPRsForWavesPerEU: 10
; NamedBarCnt: 0
; Occupancy: 16
; WaveLimiterHint : 1
; COMPUTE_PGM_RSRC2:SCRATCH_EN: 0
; COMPUTE_PGM_RSRC2:USER_SGPR: 2
; COMPUTE_PGM_RSRC2:TRAP_HANDLER: 0
; COMPUTE_PGM_RSRC2:TGID_X_EN: 1
; COMPUTE_PGM_RSRC2:TGID_Y_EN: 0
; COMPUTE_PGM_RSRC2:TGID_Z_EN: 1
; COMPUTE_PGM_RSRC2:TIDIG_COMP_CNT: 0
	.section	.text._ZL19rocblas_copy_kernelIiLi256EPfPKS0_EviT1_lT_lT2_lS4_li,"axG",@progbits,_ZL19rocblas_copy_kernelIiLi256EPfPKS0_EviT1_lT_lT2_lS4_li,comdat
	.globl	_ZL19rocblas_copy_kernelIiLi256EPfPKS0_EviT1_lT_lT2_lS4_li ; -- Begin function _ZL19rocblas_copy_kernelIiLi256EPfPKS0_EviT1_lT_lT2_lS4_li
	.p2align	8
	.type	_ZL19rocblas_copy_kernelIiLi256EPfPKS0_EviT1_lT_lT2_lS4_li,@function
_ZL19rocblas_copy_kernelIiLi256EPfPKS0_EviT1_lT_lT2_lS4_li: ; @_ZL19rocblas_copy_kernelIiLi256EPfPKS0_EviT1_lT_lT2_lS4_li
; %bb.0:
	s_load_b32 s8, s[0:1], 0x48
	s_bfe_u32 s2, ttmp6, 0x40014
	s_lshr_b32 s3, ttmp7, 16
	s_add_co_i32 s2, s2, 1
	s_bfe_u32 s5, ttmp6, 0x40008
	s_mul_i32 s4, s3, s2
	s_getreg_b32 s2, hwreg(HW_REG_IB_STS2, 6, 4)
	s_add_co_i32 s5, s5, s4
	s_cmp_eq_u32 s2, 0
	s_cselect_b32 s4, s3, s5
	s_mov_b32 s5, 0
	s_wait_kmcnt 0x0
	s_cmp_ge_u32 s4, s8
	s_cbranch_scc1 .LBB12_5
; %bb.1:
	s_clause 0x3
	s_load_b32 s6, s[0:1], 0x0
	s_load_b32 s10, s[0:1], 0x18
	s_load_b96 s[16:18], s[0:1], 0x30
	s_load_b128 s[12:15], s[0:1], 0x8
	s_bfe_u32 s3, ttmp6, 0x4000c
	s_and_b32 s7, ttmp6, 15
	s_add_co_i32 s3, s3, 1
	v_mov_b32_e32 v3, 0
	s_mul_i32 s3, ttmp9, s3
	s_delay_alu instid0(SALU_CYCLE_1)
	s_add_co_i32 s9, s7, s3
	s_wait_kmcnt 0x0
	s_ashr_i32 s7, s6, 31
	s_ashr_i32 s11, s10, 31
	;; [unrolled: 1-line block ×3, first 2 shown]
	s_lshl_b64 s[14:15], s[14:15], 2
	s_cmp_eq_u32 s2, 0
	s_cselect_b32 s2, ttmp9, s9
	s_delay_alu instid0(SALU_CYCLE_1) | instskip(SKIP_1) | instid1(VALU_DEP_1)
	v_lshl_or_b32 v2, s2, 8, v0
	s_mov_b32 s2, s18
	v_mul_u64_e32 v[4:5], s[10:11], v[2:3]
	v_mul_u64_e32 v[0:1], s[2:3], v[2:3]
	s_load_b128 s[0:3], s[0:1], 0x20
	s_add_nc_u64 s[10:11], s[12:13], s[14:15]
	v_cmp_gt_i64_e32 vcc_lo, s[6:7], v[2:3]
	s_lshl_b64 s[6:7], s[16:17], 2
	s_delay_alu instid0(VALU_DEP_3)
	v_lshl_add_u64 v[2:3], v[4:5], 2, s[10:11]
	s_branch .LBB12_3
.LBB12_2:                               ;   in Loop: Header=BB12_3 Depth=1
	s_wait_xcnt 0x0
	s_or_b32 exec_lo, exec_lo, s9
	s_add_co_i32 s4, s4, 0x10000
	s_delay_alu instid0(SALU_CYCLE_1)
	s_cmp_lt_u32 s4, s8
	s_cbranch_scc0 .LBB12_5
.LBB12_3:                               ; =>This Inner Loop Header: Depth=1
	s_and_saveexec_b32 s9, vcc_lo
	s_cbranch_execz .LBB12_2
; %bb.4:                                ;   in Loop: Header=BB12_3 Depth=1
	s_wait_kmcnt 0x0
	s_mul_u64 s[10:11], s[0:1], s[4:5]
	s_delay_alu instid0(SALU_CYCLE_1)
	v_lshl_add_u64 v[4:5], s[10:11], 2, v[2:3]
	s_load_b64 s[10:11], s[2:3], s4 offset:0x0 scale_offset
	global_load_b32 v6, v[4:5], off
	s_wait_kmcnt 0x0
	s_add_nc_u64 s[10:11], s[10:11], s[6:7]
	s_wait_xcnt 0x0
	v_lshl_add_u64 v[4:5], v[0:1], 2, s[10:11]
	s_wait_loadcnt 0x0
	flat_store_b32 v[4:5], v6
	s_branch .LBB12_2
.LBB12_5:
	s_endpgm
	.section	.rodata,"a",@progbits
	.p2align	6, 0x0
	.amdhsa_kernel _ZL19rocblas_copy_kernelIiLi256EPfPKS0_EviT1_lT_lT2_lS4_li
		.amdhsa_group_segment_fixed_size 0
		.amdhsa_private_segment_fixed_size 0
		.amdhsa_kernarg_size 76
		.amdhsa_user_sgpr_count 2
		.amdhsa_user_sgpr_dispatch_ptr 0
		.amdhsa_user_sgpr_queue_ptr 0
		.amdhsa_user_sgpr_kernarg_segment_ptr 1
		.amdhsa_user_sgpr_dispatch_id 0
		.amdhsa_user_sgpr_kernarg_preload_length 0
		.amdhsa_user_sgpr_kernarg_preload_offset 0
		.amdhsa_user_sgpr_private_segment_size 0
		.amdhsa_wavefront_size32 1
		.amdhsa_uses_dynamic_stack 0
		.amdhsa_enable_private_segment 0
		.amdhsa_system_sgpr_workgroup_id_x 1
		.amdhsa_system_sgpr_workgroup_id_y 0
		.amdhsa_system_sgpr_workgroup_id_z 1
		.amdhsa_system_sgpr_workgroup_info 0
		.amdhsa_system_vgpr_workitem_id 0
		.amdhsa_next_free_vgpr 7
		.amdhsa_next_free_sgpr 19
		.amdhsa_named_barrier_count 0
		.amdhsa_reserve_vcc 1
		.amdhsa_float_round_mode_32 0
		.amdhsa_float_round_mode_16_64 0
		.amdhsa_float_denorm_mode_32 3
		.amdhsa_float_denorm_mode_16_64 3
		.amdhsa_fp16_overflow 0
		.amdhsa_memory_ordered 1
		.amdhsa_forward_progress 1
		.amdhsa_inst_pref_size 3
		.amdhsa_round_robin_scheduling 0
		.amdhsa_exception_fp_ieee_invalid_op 0
		.amdhsa_exception_fp_denorm_src 0
		.amdhsa_exception_fp_ieee_div_zero 0
		.amdhsa_exception_fp_ieee_overflow 0
		.amdhsa_exception_fp_ieee_underflow 0
		.amdhsa_exception_fp_ieee_inexact 0
		.amdhsa_exception_int_div_zero 0
	.end_amdhsa_kernel
	.section	.text._ZL19rocblas_copy_kernelIiLi256EPfPKS0_EviT1_lT_lT2_lS4_li,"axG",@progbits,_ZL19rocblas_copy_kernelIiLi256EPfPKS0_EviT1_lT_lT2_lS4_li,comdat
.Lfunc_end12:
	.size	_ZL19rocblas_copy_kernelIiLi256EPfPKS0_EviT1_lT_lT2_lS4_li, .Lfunc_end12-_ZL19rocblas_copy_kernelIiLi256EPfPKS0_EviT1_lT_lT2_lS4_li
                                        ; -- End function
	.set _ZL19rocblas_copy_kernelIiLi256EPfPKS0_EviT1_lT_lT2_lS4_li.num_vgpr, 7
	.set _ZL19rocblas_copy_kernelIiLi256EPfPKS0_EviT1_lT_lT2_lS4_li.num_agpr, 0
	.set _ZL19rocblas_copy_kernelIiLi256EPfPKS0_EviT1_lT_lT2_lS4_li.numbered_sgpr, 19
	.set _ZL19rocblas_copy_kernelIiLi256EPfPKS0_EviT1_lT_lT2_lS4_li.num_named_barrier, 0
	.set _ZL19rocblas_copy_kernelIiLi256EPfPKS0_EviT1_lT_lT2_lS4_li.private_seg_size, 0
	.set _ZL19rocblas_copy_kernelIiLi256EPfPKS0_EviT1_lT_lT2_lS4_li.uses_vcc, 1
	.set _ZL19rocblas_copy_kernelIiLi256EPfPKS0_EviT1_lT_lT2_lS4_li.uses_flat_scratch, 0
	.set _ZL19rocblas_copy_kernelIiLi256EPfPKS0_EviT1_lT_lT2_lS4_li.has_dyn_sized_stack, 0
	.set _ZL19rocblas_copy_kernelIiLi256EPfPKS0_EviT1_lT_lT2_lS4_li.has_recursion, 0
	.set _ZL19rocblas_copy_kernelIiLi256EPfPKS0_EviT1_lT_lT2_lS4_li.has_indirect_call, 0
	.section	.AMDGPU.csdata,"",@progbits
; Kernel info:
; codeLenInByte = 344
; TotalNumSgprs: 21
; NumVgprs: 7
; ScratchSize: 0
; MemoryBound: 0
; FloatMode: 240
; IeeeMode: 1
; LDSByteSize: 0 bytes/workgroup (compile time only)
; SGPRBlocks: 0
; VGPRBlocks: 0
; NumSGPRsForWavesPerEU: 21
; NumVGPRsForWavesPerEU: 7
; NamedBarCnt: 0
; Occupancy: 16
; WaveLimiterHint : 1
; COMPUTE_PGM_RSRC2:SCRATCH_EN: 0
; COMPUTE_PGM_RSRC2:USER_SGPR: 2
; COMPUTE_PGM_RSRC2:TRAP_HANDLER: 0
; COMPUTE_PGM_RSRC2:TGID_X_EN: 1
; COMPUTE_PGM_RSRC2:TGID_Y_EN: 0
; COMPUTE_PGM_RSRC2:TGID_Z_EN: 1
; COMPUTE_PGM_RSRC2:TIDIG_COMP_CNT: 0
	.section	.text._ZL22rocblas_scopy_2_kernelILi256EPfPKS0_EviT0_llT1_lli,"axG",@progbits,_ZL22rocblas_scopy_2_kernelILi256EPfPKS0_EviT0_llT1_lli,comdat
	.globl	_ZL22rocblas_scopy_2_kernelILi256EPfPKS0_EviT0_llT1_lli ; -- Begin function _ZL22rocblas_scopy_2_kernelILi256EPfPKS0_EviT0_llT1_lli
	.p2align	8
	.type	_ZL22rocblas_scopy_2_kernelILi256EPfPKS0_EviT0_llT1_lli,@function
_ZL22rocblas_scopy_2_kernelILi256EPfPKS0_EviT0_llT1_lli: ; @_ZL22rocblas_scopy_2_kernelILi256EPfPKS0_EviT0_llT1_lli
; %bb.0:
	s_load_b32 s12, s[0:1], 0x38
	s_bfe_u32 s2, ttmp6, 0x40014
	s_lshr_b32 s3, ttmp7, 16
	s_add_co_i32 s2, s2, 1
	s_bfe_u32 s4, ttmp6, 0x40008
	s_mul_i32 s2, s3, s2
	s_getreg_b32 s13, hwreg(HW_REG_IB_STS2, 6, 4)
	s_add_co_i32 s4, s4, s2
	s_cmp_eq_u32 s13, 0
	s_cselect_b32 s2, s3, s4
	s_mov_b32 s3, 0
	s_wait_kmcnt 0x0
	s_cmp_ge_u32 s2, s12
	s_cbranch_scc1 .LBB13_7
; %bb.1:
	s_clause 0x1
	s_load_b32 s18, s[0:1], 0x0
	s_load_b256 s[4:11], s[0:1], 0x10
	s_bfe_u32 s16, ttmp6, 0x4000c
	s_load_b64 s[14:15], s[0:1], 0x8
	s_add_co_i32 s16, s16, 1
	s_wait_xcnt 0x0
	s_and_b32 s0, ttmp6, 15
	s_mul_i32 s1, ttmp9, s16
	v_dual_mov_b32 v3, 0 :: v_dual_lshlrev_b32 v0, 1, v0
	s_add_co_i32 s0, s0, s1
	s_cmp_eq_u32 s13, 0
	s_cselect_b32 s0, ttmp9, s0
	s_delay_alu instid0(VALU_DEP_1) | instid1(SALU_CYCLE_1)
	v_lshl_or_b32 v2, s0, 9, v0
	s_delay_alu instid0(VALU_DEP_1)
	v_lshlrev_b64_e32 v[0:1], 2, v[2:3]
	s_wait_kmcnt 0x0
	s_add_co_i32 s16, s18, -1
	s_lshl_b64 s[4:5], s[4:5], 2
	s_ashr_i32 s17, s16, 31
	s_bitcmp1_b32 s18, 0
	v_cmp_eq_u64_e64 s0, s[16:17], v[2:3]
	s_cselect_b32 s1, -1, 0
	s_add_nc_u64 s[4:5], s[14:15], s[4:5]
	v_cmp_gt_i64_e32 vcc_lo, s[16:17], v[2:3]
	s_and_b32 s13, s1, s0
	s_lshl_b64 s[0:1], s[10:11], 2
	s_branch .LBB13_3
.LBB13_2:                               ;   in Loop: Header=BB13_3 Depth=1
	s_wait_xcnt 0x0
	s_or_b32 exec_lo, exec_lo, s10
	s_add_co_i32 s2, s2, 0x10000
	s_delay_alu instid0(SALU_CYCLE_1)
	s_cmp_lt_u32 s2, s12
	s_cbranch_scc0 .LBB13_7
.LBB13_3:                               ; =>This Inner Loop Header: Depth=1
	s_load_b64 s[10:11], s[8:9], s2 offset:0x0 scale_offset
	s_mul_u64 s[14:15], s[6:7], s[2:3]
	s_delay_alu instid0(SALU_CYCLE_1) | instskip(NEXT) | instid1(SALU_CYCLE_1)
	s_lshl_b64 s[14:15], s[14:15], 2
	s_add_nc_u64 s[14:15], s[4:5], s[14:15]
	s_delay_alu instid0(SALU_CYCLE_1) | instskip(SKIP_2) | instid1(SALU_CYCLE_1)
	v_add_nc_u64_e32 v[2:3], s[14:15], v[0:1]
	s_wait_kmcnt 0x0
	s_add_nc_u64 s[10:11], s[10:11], s[0:1]
	v_add_nc_u64_e32 v[4:5], s[10:11], v[0:1]
	s_and_saveexec_b32 s10, vcc_lo
	s_cbranch_execnz .LBB13_5
; %bb.4:                                ;   in Loop: Header=BB13_3 Depth=1
	s_or_b32 exec_lo, exec_lo, s10
	s_and_saveexec_b32 s10, s13
	s_cbranch_execz .LBB13_2
	s_branch .LBB13_6
.LBB13_5:                               ;   in Loop: Header=BB13_3 Depth=1
	global_load_b64 v[6:7], v[2:3], off
	s_wait_loadcnt 0x0
	flat_store_b64 v[4:5], v[6:7]
	s_wait_xcnt 0x0
	s_or_b32 exec_lo, exec_lo, s10
	s_and_saveexec_b32 s10, s13
	s_cbranch_execz .LBB13_2
.LBB13_6:                               ;   in Loop: Header=BB13_3 Depth=1
	global_load_b32 v2, v[2:3], off
	s_wait_loadcnt 0x0
	flat_store_b32 v[4:5], v2
	s_branch .LBB13_2
.LBB13_7:
	s_endpgm
	.section	.rodata,"a",@progbits
	.p2align	6, 0x0
	.amdhsa_kernel _ZL22rocblas_scopy_2_kernelILi256EPfPKS0_EviT0_llT1_lli
		.amdhsa_group_segment_fixed_size 0
		.amdhsa_private_segment_fixed_size 0
		.amdhsa_kernarg_size 60
		.amdhsa_user_sgpr_count 2
		.amdhsa_user_sgpr_dispatch_ptr 0
		.amdhsa_user_sgpr_queue_ptr 0
		.amdhsa_user_sgpr_kernarg_segment_ptr 1
		.amdhsa_user_sgpr_dispatch_id 0
		.amdhsa_user_sgpr_kernarg_preload_length 0
		.amdhsa_user_sgpr_kernarg_preload_offset 0
		.amdhsa_user_sgpr_private_segment_size 0
		.amdhsa_wavefront_size32 1
		.amdhsa_uses_dynamic_stack 0
		.amdhsa_enable_private_segment 0
		.amdhsa_system_sgpr_workgroup_id_x 1
		.amdhsa_system_sgpr_workgroup_id_y 0
		.amdhsa_system_sgpr_workgroup_id_z 1
		.amdhsa_system_sgpr_workgroup_info 0
		.amdhsa_system_vgpr_workitem_id 0
		.amdhsa_next_free_vgpr 8
		.amdhsa_next_free_sgpr 19
		.amdhsa_named_barrier_count 0
		.amdhsa_reserve_vcc 1
		.amdhsa_float_round_mode_32 0
		.amdhsa_float_round_mode_16_64 0
		.amdhsa_float_denorm_mode_32 3
		.amdhsa_float_denorm_mode_16_64 3
		.amdhsa_fp16_overflow 0
		.amdhsa_memory_ordered 1
		.amdhsa_forward_progress 1
		.amdhsa_inst_pref_size 4
		.amdhsa_round_robin_scheduling 0
		.amdhsa_exception_fp_ieee_invalid_op 0
		.amdhsa_exception_fp_denorm_src 0
		.amdhsa_exception_fp_ieee_div_zero 0
		.amdhsa_exception_fp_ieee_overflow 0
		.amdhsa_exception_fp_ieee_underflow 0
		.amdhsa_exception_fp_ieee_inexact 0
		.amdhsa_exception_int_div_zero 0
	.end_amdhsa_kernel
	.section	.text._ZL22rocblas_scopy_2_kernelILi256EPfPKS0_EviT0_llT1_lli,"axG",@progbits,_ZL22rocblas_scopy_2_kernelILi256EPfPKS0_EviT0_llT1_lli,comdat
.Lfunc_end13:
	.size	_ZL22rocblas_scopy_2_kernelILi256EPfPKS0_EviT0_llT1_lli, .Lfunc_end13-_ZL22rocblas_scopy_2_kernelILi256EPfPKS0_EviT0_llT1_lli
                                        ; -- End function
	.set _ZL22rocblas_scopy_2_kernelILi256EPfPKS0_EviT0_llT1_lli.num_vgpr, 8
	.set _ZL22rocblas_scopy_2_kernelILi256EPfPKS0_EviT0_llT1_lli.num_agpr, 0
	.set _ZL22rocblas_scopy_2_kernelILi256EPfPKS0_EviT0_llT1_lli.numbered_sgpr, 19
	.set _ZL22rocblas_scopy_2_kernelILi256EPfPKS0_EviT0_llT1_lli.num_named_barrier, 0
	.set _ZL22rocblas_scopy_2_kernelILi256EPfPKS0_EviT0_llT1_lli.private_seg_size, 0
	.set _ZL22rocblas_scopy_2_kernelILi256EPfPKS0_EviT0_llT1_lli.uses_vcc, 1
	.set _ZL22rocblas_scopy_2_kernelILi256EPfPKS0_EviT0_llT1_lli.uses_flat_scratch, 0
	.set _ZL22rocblas_scopy_2_kernelILi256EPfPKS0_EviT0_llT1_lli.has_dyn_sized_stack, 0
	.set _ZL22rocblas_scopy_2_kernelILi256EPfPKS0_EviT0_llT1_lli.has_recursion, 0
	.set _ZL22rocblas_scopy_2_kernelILi256EPfPKS0_EviT0_llT1_lli.has_indirect_call, 0
	.section	.AMDGPU.csdata,"",@progbits
; Kernel info:
; codeLenInByte = 388
; TotalNumSgprs: 21
; NumVgprs: 8
; ScratchSize: 0
; MemoryBound: 0
; FloatMode: 240
; IeeeMode: 1
; LDSByteSize: 0 bytes/workgroup (compile time only)
; SGPRBlocks: 0
; VGPRBlocks: 0
; NumSGPRsForWavesPerEU: 21
; NumVGPRsForWavesPerEU: 8
; NamedBarCnt: 0
; Occupancy: 16
; WaveLimiterHint : 1
; COMPUTE_PGM_RSRC2:SCRATCH_EN: 0
; COMPUTE_PGM_RSRC2:USER_SGPR: 2
; COMPUTE_PGM_RSRC2:TRAP_HANDLER: 0
; COMPUTE_PGM_RSRC2:TGID_X_EN: 1
; COMPUTE_PGM_RSRC2:TGID_Y_EN: 0
; COMPUTE_PGM_RSRC2:TGID_Z_EN: 1
; COMPUTE_PGM_RSRC2:TIDIG_COMP_CNT: 0
	.section	.text._ZL19rocblas_copy_kernelIiLi256EPdPKS0_EviT1_lT_lT2_lS4_li,"axG",@progbits,_ZL19rocblas_copy_kernelIiLi256EPdPKS0_EviT1_lT_lT2_lS4_li,comdat
	.globl	_ZL19rocblas_copy_kernelIiLi256EPdPKS0_EviT1_lT_lT2_lS4_li ; -- Begin function _ZL19rocblas_copy_kernelIiLi256EPdPKS0_EviT1_lT_lT2_lS4_li
	.p2align	8
	.type	_ZL19rocblas_copy_kernelIiLi256EPdPKS0_EviT1_lT_lT2_lS4_li,@function
_ZL19rocblas_copy_kernelIiLi256EPdPKS0_EviT1_lT_lT2_lS4_li: ; @_ZL19rocblas_copy_kernelIiLi256EPdPKS0_EviT1_lT_lT2_lS4_li
; %bb.0:
	s_load_b32 s8, s[0:1], 0x48
	s_bfe_u32 s2, ttmp6, 0x40014
	s_lshr_b32 s3, ttmp7, 16
	s_add_co_i32 s2, s2, 1
	s_bfe_u32 s5, ttmp6, 0x40008
	s_mul_i32 s4, s3, s2
	s_getreg_b32 s2, hwreg(HW_REG_IB_STS2, 6, 4)
	s_add_co_i32 s5, s5, s4
	s_cmp_eq_u32 s2, 0
	s_cselect_b32 s4, s3, s5
	s_mov_b32 s5, 0
	s_wait_kmcnt 0x0
	s_cmp_ge_u32 s4, s8
	s_cbranch_scc1 .LBB14_5
; %bb.1:
	s_clause 0x3
	s_load_b32 s6, s[0:1], 0x0
	s_load_b32 s10, s[0:1], 0x18
	s_load_b96 s[16:18], s[0:1], 0x30
	s_load_b128 s[12:15], s[0:1], 0x8
	s_bfe_u32 s3, ttmp6, 0x4000c
	s_and_b32 s7, ttmp6, 15
	s_add_co_i32 s3, s3, 1
	v_mov_b32_e32 v3, 0
	s_mul_i32 s3, ttmp9, s3
	s_delay_alu instid0(SALU_CYCLE_1)
	s_add_co_i32 s9, s7, s3
	s_wait_kmcnt 0x0
	s_ashr_i32 s7, s6, 31
	s_ashr_i32 s11, s10, 31
	;; [unrolled: 1-line block ×3, first 2 shown]
	s_lshl_b64 s[14:15], s[14:15], 3
	s_cmp_eq_u32 s2, 0
	s_cselect_b32 s2, ttmp9, s9
	s_delay_alu instid0(SALU_CYCLE_1) | instskip(SKIP_1) | instid1(VALU_DEP_1)
	v_lshl_or_b32 v2, s2, 8, v0
	s_mov_b32 s2, s18
	v_mul_u64_e32 v[4:5], s[10:11], v[2:3]
	v_mul_u64_e32 v[0:1], s[2:3], v[2:3]
	s_load_b128 s[0:3], s[0:1], 0x20
	s_add_nc_u64 s[10:11], s[12:13], s[14:15]
	v_cmp_gt_i64_e32 vcc_lo, s[6:7], v[2:3]
	s_lshl_b64 s[6:7], s[16:17], 3
	s_delay_alu instid0(VALU_DEP_3)
	v_lshl_add_u64 v[2:3], v[4:5], 3, s[10:11]
	s_branch .LBB14_3
.LBB14_2:                               ;   in Loop: Header=BB14_3 Depth=1
	s_wait_xcnt 0x0
	s_or_b32 exec_lo, exec_lo, s9
	s_add_co_i32 s4, s4, 0x10000
	s_delay_alu instid0(SALU_CYCLE_1)
	s_cmp_lt_u32 s4, s8
	s_cbranch_scc0 .LBB14_5
.LBB14_3:                               ; =>This Inner Loop Header: Depth=1
	s_and_saveexec_b32 s9, vcc_lo
	s_cbranch_execz .LBB14_2
; %bb.4:                                ;   in Loop: Header=BB14_3 Depth=1
	s_wait_kmcnt 0x0
	s_mul_u64 s[10:11], s[0:1], s[4:5]
	s_delay_alu instid0(SALU_CYCLE_1) | instskip(SKIP_4) | instid1(SALU_CYCLE_1)
	v_lshl_add_u64 v[4:5], s[10:11], 3, v[2:3]
	s_load_b64 s[10:11], s[2:3], s4 offset:0x0 scale_offset
	global_load_b64 v[4:5], v[4:5], off
	s_wait_kmcnt 0x0
	s_add_nc_u64 s[10:11], s[10:11], s[6:7]
	v_lshl_add_u64 v[6:7], v[0:1], 3, s[10:11]
	s_wait_loadcnt 0x0
	flat_store_b64 v[6:7], v[4:5]
	s_branch .LBB14_2
.LBB14_5:
	s_endpgm
	.section	.rodata,"a",@progbits
	.p2align	6, 0x0
	.amdhsa_kernel _ZL19rocblas_copy_kernelIiLi256EPdPKS0_EviT1_lT_lT2_lS4_li
		.amdhsa_group_segment_fixed_size 0
		.amdhsa_private_segment_fixed_size 0
		.amdhsa_kernarg_size 76
		.amdhsa_user_sgpr_count 2
		.amdhsa_user_sgpr_dispatch_ptr 0
		.amdhsa_user_sgpr_queue_ptr 0
		.amdhsa_user_sgpr_kernarg_segment_ptr 1
		.amdhsa_user_sgpr_dispatch_id 0
		.amdhsa_user_sgpr_kernarg_preload_length 0
		.amdhsa_user_sgpr_kernarg_preload_offset 0
		.amdhsa_user_sgpr_private_segment_size 0
		.amdhsa_wavefront_size32 1
		.amdhsa_uses_dynamic_stack 0
		.amdhsa_enable_private_segment 0
		.amdhsa_system_sgpr_workgroup_id_x 1
		.amdhsa_system_sgpr_workgroup_id_y 0
		.amdhsa_system_sgpr_workgroup_id_z 1
		.amdhsa_system_sgpr_workgroup_info 0
		.amdhsa_system_vgpr_workitem_id 0
		.amdhsa_next_free_vgpr 8
		.amdhsa_next_free_sgpr 19
		.amdhsa_named_barrier_count 0
		.amdhsa_reserve_vcc 1
		.amdhsa_float_round_mode_32 0
		.amdhsa_float_round_mode_16_64 0
		.amdhsa_float_denorm_mode_32 3
		.amdhsa_float_denorm_mode_16_64 3
		.amdhsa_fp16_overflow 0
		.amdhsa_memory_ordered 1
		.amdhsa_forward_progress 1
		.amdhsa_inst_pref_size 3
		.amdhsa_round_robin_scheduling 0
		.amdhsa_exception_fp_ieee_invalid_op 0
		.amdhsa_exception_fp_denorm_src 0
		.amdhsa_exception_fp_ieee_div_zero 0
		.amdhsa_exception_fp_ieee_overflow 0
		.amdhsa_exception_fp_ieee_underflow 0
		.amdhsa_exception_fp_ieee_inexact 0
		.amdhsa_exception_int_div_zero 0
	.end_amdhsa_kernel
	.section	.text._ZL19rocblas_copy_kernelIiLi256EPdPKS0_EviT1_lT_lT2_lS4_li,"axG",@progbits,_ZL19rocblas_copy_kernelIiLi256EPdPKS0_EviT1_lT_lT2_lS4_li,comdat
.Lfunc_end14:
	.size	_ZL19rocblas_copy_kernelIiLi256EPdPKS0_EviT1_lT_lT2_lS4_li, .Lfunc_end14-_ZL19rocblas_copy_kernelIiLi256EPdPKS0_EviT1_lT_lT2_lS4_li
                                        ; -- End function
	.set _ZL19rocblas_copy_kernelIiLi256EPdPKS0_EviT1_lT_lT2_lS4_li.num_vgpr, 8
	.set _ZL19rocblas_copy_kernelIiLi256EPdPKS0_EviT1_lT_lT2_lS4_li.num_agpr, 0
	.set _ZL19rocblas_copy_kernelIiLi256EPdPKS0_EviT1_lT_lT2_lS4_li.numbered_sgpr, 19
	.set _ZL19rocblas_copy_kernelIiLi256EPdPKS0_EviT1_lT_lT2_lS4_li.num_named_barrier, 0
	.set _ZL19rocblas_copy_kernelIiLi256EPdPKS0_EviT1_lT_lT2_lS4_li.private_seg_size, 0
	.set _ZL19rocblas_copy_kernelIiLi256EPdPKS0_EviT1_lT_lT2_lS4_li.uses_vcc, 1
	.set _ZL19rocblas_copy_kernelIiLi256EPdPKS0_EviT1_lT_lT2_lS4_li.uses_flat_scratch, 0
	.set _ZL19rocblas_copy_kernelIiLi256EPdPKS0_EviT1_lT_lT2_lS4_li.has_dyn_sized_stack, 0
	.set _ZL19rocblas_copy_kernelIiLi256EPdPKS0_EviT1_lT_lT2_lS4_li.has_recursion, 0
	.set _ZL19rocblas_copy_kernelIiLi256EPdPKS0_EviT1_lT_lT2_lS4_li.has_indirect_call, 0
	.section	.AMDGPU.csdata,"",@progbits
; Kernel info:
; codeLenInByte = 340
; TotalNumSgprs: 21
; NumVgprs: 8
; ScratchSize: 0
; MemoryBound: 0
; FloatMode: 240
; IeeeMode: 1
; LDSByteSize: 0 bytes/workgroup (compile time only)
; SGPRBlocks: 0
; VGPRBlocks: 0
; NumSGPRsForWavesPerEU: 21
; NumVGPRsForWavesPerEU: 8
; NamedBarCnt: 0
; Occupancy: 16
; WaveLimiterHint : 1
; COMPUTE_PGM_RSRC2:SCRATCH_EN: 0
; COMPUTE_PGM_RSRC2:USER_SGPR: 2
; COMPUTE_PGM_RSRC2:TRAP_HANDLER: 0
; COMPUTE_PGM_RSRC2:TGID_X_EN: 1
; COMPUTE_PGM_RSRC2:TGID_Y_EN: 0
; COMPUTE_PGM_RSRC2:TGID_Z_EN: 1
; COMPUTE_PGM_RSRC2:TIDIG_COMP_CNT: 0
	.section	.text._ZL19rocblas_copy_kernelIiLi256EP19rocblas_complex_numIfEPKS2_EviT1_lT_lT2_lS6_li,"axG",@progbits,_ZL19rocblas_copy_kernelIiLi256EP19rocblas_complex_numIfEPKS2_EviT1_lT_lT2_lS6_li,comdat
	.globl	_ZL19rocblas_copy_kernelIiLi256EP19rocblas_complex_numIfEPKS2_EviT1_lT_lT2_lS6_li ; -- Begin function _ZL19rocblas_copy_kernelIiLi256EP19rocblas_complex_numIfEPKS2_EviT1_lT_lT2_lS6_li
	.p2align	8
	.type	_ZL19rocblas_copy_kernelIiLi256EP19rocblas_complex_numIfEPKS2_EviT1_lT_lT2_lS6_li,@function
_ZL19rocblas_copy_kernelIiLi256EP19rocblas_complex_numIfEPKS2_EviT1_lT_lT2_lS6_li: ; @_ZL19rocblas_copy_kernelIiLi256EP19rocblas_complex_numIfEPKS2_EviT1_lT_lT2_lS6_li
; %bb.0:
	s_load_b32 s8, s[0:1], 0x48
	s_bfe_u32 s2, ttmp6, 0x40014
	s_lshr_b32 s3, ttmp7, 16
	s_add_co_i32 s2, s2, 1
	s_bfe_u32 s5, ttmp6, 0x40008
	s_mul_i32 s4, s3, s2
	s_getreg_b32 s2, hwreg(HW_REG_IB_STS2, 6, 4)
	s_add_co_i32 s5, s5, s4
	s_cmp_eq_u32 s2, 0
	s_cselect_b32 s4, s3, s5
	s_mov_b32 s5, 0
	s_wait_kmcnt 0x0
	s_cmp_ge_u32 s4, s8
	s_cbranch_scc1 .LBB15_5
; %bb.1:
	s_clause 0x3
	s_load_b32 s6, s[0:1], 0x0
	s_load_b32 s10, s[0:1], 0x18
	s_load_b96 s[16:18], s[0:1], 0x30
	s_load_b128 s[12:15], s[0:1], 0x8
	s_bfe_u32 s3, ttmp6, 0x4000c
	s_and_b32 s7, ttmp6, 15
	s_add_co_i32 s3, s3, 1
	v_mov_b32_e32 v3, 0
	s_mul_i32 s3, ttmp9, s3
	s_delay_alu instid0(SALU_CYCLE_1)
	s_add_co_i32 s9, s7, s3
	s_wait_kmcnt 0x0
	s_ashr_i32 s7, s6, 31
	s_ashr_i32 s11, s10, 31
	;; [unrolled: 1-line block ×3, first 2 shown]
	s_lshl_b64 s[14:15], s[14:15], 3
	s_cmp_eq_u32 s2, 0
	s_cselect_b32 s2, ttmp9, s9
	s_delay_alu instid0(SALU_CYCLE_1) | instskip(SKIP_1) | instid1(VALU_DEP_1)
	v_lshl_or_b32 v2, s2, 8, v0
	s_mov_b32 s2, s18
	v_mul_u64_e32 v[4:5], s[10:11], v[2:3]
	v_mul_u64_e32 v[0:1], s[2:3], v[2:3]
	s_load_b128 s[0:3], s[0:1], 0x20
	s_add_nc_u64 s[10:11], s[12:13], s[14:15]
	v_cmp_gt_i64_e32 vcc_lo, s[6:7], v[2:3]
	s_lshl_b64 s[6:7], s[16:17], 3
	s_delay_alu instid0(VALU_DEP_3)
	v_lshl_add_u64 v[2:3], v[4:5], 3, s[10:11]
	s_branch .LBB15_3
.LBB15_2:                               ;   in Loop: Header=BB15_3 Depth=1
	s_wait_xcnt 0x0
	s_or_b32 exec_lo, exec_lo, s9
	s_add_co_i32 s4, s4, 0x10000
	s_delay_alu instid0(SALU_CYCLE_1)
	s_cmp_lt_u32 s4, s8
	s_cbranch_scc0 .LBB15_5
.LBB15_3:                               ; =>This Inner Loop Header: Depth=1
	s_and_saveexec_b32 s9, vcc_lo
	s_cbranch_execz .LBB15_2
; %bb.4:                                ;   in Loop: Header=BB15_3 Depth=1
	v_mov_b32_e32 v4, s4
	s_wait_kmcnt 0x0
	s_mul_u64 s[10:11], s[0:1], s[4:5]
	s_delay_alu instid0(SALU_CYCLE_1)
	v_lshl_add_u64 v[6:7], s[10:11], 3, v[2:3]
	global_load_b64 v[4:5], v4, s[2:3] scale_offset
	global_load_b64 v[6:7], v[6:7], off
	s_wait_loadcnt 0x1
	s_wait_xcnt 0x1
	v_add_nc_u64_e32 v[4:5], s[6:7], v[4:5]
	s_delay_alu instid0(VALU_DEP_1)
	v_lshl_add_u64 v[4:5], v[0:1], 3, v[4:5]
	s_wait_loadcnt 0x0
	flat_store_b64 v[4:5], v[6:7]
	s_branch .LBB15_2
.LBB15_5:
	s_endpgm
	.section	.rodata,"a",@progbits
	.p2align	6, 0x0
	.amdhsa_kernel _ZL19rocblas_copy_kernelIiLi256EP19rocblas_complex_numIfEPKS2_EviT1_lT_lT2_lS6_li
		.amdhsa_group_segment_fixed_size 0
		.amdhsa_private_segment_fixed_size 0
		.amdhsa_kernarg_size 76
		.amdhsa_user_sgpr_count 2
		.amdhsa_user_sgpr_dispatch_ptr 0
		.amdhsa_user_sgpr_queue_ptr 0
		.amdhsa_user_sgpr_kernarg_segment_ptr 1
		.amdhsa_user_sgpr_dispatch_id 0
		.amdhsa_user_sgpr_kernarg_preload_length 0
		.amdhsa_user_sgpr_kernarg_preload_offset 0
		.amdhsa_user_sgpr_private_segment_size 0
		.amdhsa_wavefront_size32 1
		.amdhsa_uses_dynamic_stack 0
		.amdhsa_enable_private_segment 0
		.amdhsa_system_sgpr_workgroup_id_x 1
		.amdhsa_system_sgpr_workgroup_id_y 0
		.amdhsa_system_sgpr_workgroup_id_z 1
		.amdhsa_system_sgpr_workgroup_info 0
		.amdhsa_system_vgpr_workitem_id 0
		.amdhsa_next_free_vgpr 8
		.amdhsa_next_free_sgpr 19
		.amdhsa_named_barrier_count 0
		.amdhsa_reserve_vcc 1
		.amdhsa_float_round_mode_32 0
		.amdhsa_float_round_mode_16_64 0
		.amdhsa_float_denorm_mode_32 3
		.amdhsa_float_denorm_mode_16_64 3
		.amdhsa_fp16_overflow 0
		.amdhsa_memory_ordered 1
		.amdhsa_forward_progress 1
		.amdhsa_inst_pref_size 3
		.amdhsa_round_robin_scheduling 0
		.amdhsa_exception_fp_ieee_invalid_op 0
		.amdhsa_exception_fp_denorm_src 0
		.amdhsa_exception_fp_ieee_div_zero 0
		.amdhsa_exception_fp_ieee_overflow 0
		.amdhsa_exception_fp_ieee_underflow 0
		.amdhsa_exception_fp_ieee_inexact 0
		.amdhsa_exception_int_div_zero 0
	.end_amdhsa_kernel
	.section	.text._ZL19rocblas_copy_kernelIiLi256EP19rocblas_complex_numIfEPKS2_EviT1_lT_lT2_lS6_li,"axG",@progbits,_ZL19rocblas_copy_kernelIiLi256EP19rocblas_complex_numIfEPKS2_EviT1_lT_lT2_lS6_li,comdat
.Lfunc_end15:
	.size	_ZL19rocblas_copy_kernelIiLi256EP19rocblas_complex_numIfEPKS2_EviT1_lT_lT2_lS6_li, .Lfunc_end15-_ZL19rocblas_copy_kernelIiLi256EP19rocblas_complex_numIfEPKS2_EviT1_lT_lT2_lS6_li
                                        ; -- End function
	.set _ZL19rocblas_copy_kernelIiLi256EP19rocblas_complex_numIfEPKS2_EviT1_lT_lT2_lS6_li.num_vgpr, 8
	.set _ZL19rocblas_copy_kernelIiLi256EP19rocblas_complex_numIfEPKS2_EviT1_lT_lT2_lS6_li.num_agpr, 0
	.set _ZL19rocblas_copy_kernelIiLi256EP19rocblas_complex_numIfEPKS2_EviT1_lT_lT2_lS6_li.numbered_sgpr, 19
	.set _ZL19rocblas_copy_kernelIiLi256EP19rocblas_complex_numIfEPKS2_EviT1_lT_lT2_lS6_li.num_named_barrier, 0
	.set _ZL19rocblas_copy_kernelIiLi256EP19rocblas_complex_numIfEPKS2_EviT1_lT_lT2_lS6_li.private_seg_size, 0
	.set _ZL19rocblas_copy_kernelIiLi256EP19rocblas_complex_numIfEPKS2_EviT1_lT_lT2_lS6_li.uses_vcc, 1
	.set _ZL19rocblas_copy_kernelIiLi256EP19rocblas_complex_numIfEPKS2_EviT1_lT_lT2_lS6_li.uses_flat_scratch, 0
	.set _ZL19rocblas_copy_kernelIiLi256EP19rocblas_complex_numIfEPKS2_EviT1_lT_lT2_lS6_li.has_dyn_sized_stack, 0
	.set _ZL19rocblas_copy_kernelIiLi256EP19rocblas_complex_numIfEPKS2_EviT1_lT_lT2_lS6_li.has_recursion, 0
	.set _ZL19rocblas_copy_kernelIiLi256EP19rocblas_complex_numIfEPKS2_EviT1_lT_lT2_lS6_li.has_indirect_call, 0
	.section	.AMDGPU.csdata,"",@progbits
; Kernel info:
; codeLenInByte = 356
; TotalNumSgprs: 21
; NumVgprs: 8
; ScratchSize: 0
; MemoryBound: 0
; FloatMode: 240
; IeeeMode: 1
; LDSByteSize: 0 bytes/workgroup (compile time only)
; SGPRBlocks: 0
; VGPRBlocks: 0
; NumSGPRsForWavesPerEU: 21
; NumVGPRsForWavesPerEU: 8
; NamedBarCnt: 0
; Occupancy: 16
; WaveLimiterHint : 1
; COMPUTE_PGM_RSRC2:SCRATCH_EN: 0
; COMPUTE_PGM_RSRC2:USER_SGPR: 2
; COMPUTE_PGM_RSRC2:TRAP_HANDLER: 0
; COMPUTE_PGM_RSRC2:TGID_X_EN: 1
; COMPUTE_PGM_RSRC2:TGID_Y_EN: 0
; COMPUTE_PGM_RSRC2:TGID_Z_EN: 1
; COMPUTE_PGM_RSRC2:TIDIG_COMP_CNT: 0
	.section	.text._ZL19rocblas_copy_kernelIiLi256EP19rocblas_complex_numIdEPKS2_EviT1_lT_lT2_lS6_li,"axG",@progbits,_ZL19rocblas_copy_kernelIiLi256EP19rocblas_complex_numIdEPKS2_EviT1_lT_lT2_lS6_li,comdat
	.globl	_ZL19rocblas_copy_kernelIiLi256EP19rocblas_complex_numIdEPKS2_EviT1_lT_lT2_lS6_li ; -- Begin function _ZL19rocblas_copy_kernelIiLi256EP19rocblas_complex_numIdEPKS2_EviT1_lT_lT2_lS6_li
	.p2align	8
	.type	_ZL19rocblas_copy_kernelIiLi256EP19rocblas_complex_numIdEPKS2_EviT1_lT_lT2_lS6_li,@function
_ZL19rocblas_copy_kernelIiLi256EP19rocblas_complex_numIdEPKS2_EviT1_lT_lT2_lS6_li: ; @_ZL19rocblas_copy_kernelIiLi256EP19rocblas_complex_numIdEPKS2_EviT1_lT_lT2_lS6_li
; %bb.0:
	s_load_b32 s8, s[0:1], 0x48
	s_bfe_u32 s2, ttmp6, 0x40014
	s_lshr_b32 s3, ttmp7, 16
	s_add_co_i32 s2, s2, 1
	s_bfe_u32 s5, ttmp6, 0x40008
	s_mul_i32 s4, s3, s2
	s_getreg_b32 s2, hwreg(HW_REG_IB_STS2, 6, 4)
	s_add_co_i32 s5, s5, s4
	s_cmp_eq_u32 s2, 0
	s_cselect_b32 s4, s3, s5
	s_mov_b32 s5, 0
	s_wait_kmcnt 0x0
	s_cmp_ge_u32 s4, s8
	s_cbranch_scc1 .LBB16_5
; %bb.1:
	s_clause 0x3
	s_load_b32 s6, s[0:1], 0x0
	s_load_b32 s10, s[0:1], 0x18
	s_load_b96 s[16:18], s[0:1], 0x30
	s_load_b128 s[12:15], s[0:1], 0x8
	s_bfe_u32 s3, ttmp6, 0x4000c
	s_and_b32 s7, ttmp6, 15
	s_add_co_i32 s3, s3, 1
	v_mov_b32_e32 v3, 0
	s_mul_i32 s3, ttmp9, s3
	s_delay_alu instid0(SALU_CYCLE_1)
	s_add_co_i32 s9, s7, s3
	s_wait_kmcnt 0x0
	s_ashr_i32 s7, s6, 31
	s_ashr_i32 s11, s10, 31
	s_ashr_i32 s3, s18, 31
	s_lshl_b64 s[14:15], s[14:15], 4
	s_cmp_eq_u32 s2, 0
	s_cselect_b32 s2, ttmp9, s9
	s_delay_alu instid0(SALU_CYCLE_1) | instskip(SKIP_1) | instid1(VALU_DEP_1)
	v_lshl_or_b32 v2, s2, 8, v0
	s_mov_b32 s2, s18
	v_mul_u64_e32 v[4:5], s[10:11], v[2:3]
	v_mul_u64_e32 v[0:1], s[2:3], v[2:3]
	s_load_b128 s[0:3], s[0:1], 0x20
	s_add_nc_u64 s[10:11], s[12:13], s[14:15]
	v_cmp_gt_i64_e32 vcc_lo, s[6:7], v[2:3]
	s_lshl_b64 s[6:7], s[16:17], 4
	s_delay_alu instid0(VALU_DEP_3)
	v_lshl_add_u64 v[2:3], v[4:5], 4, s[10:11]
	s_branch .LBB16_3
.LBB16_2:                               ;   in Loop: Header=BB16_3 Depth=1
	s_wait_xcnt 0x0
	s_or_b32 exec_lo, exec_lo, s9
	s_add_co_i32 s4, s4, 0x10000
	s_delay_alu instid0(SALU_CYCLE_1)
	s_cmp_lt_u32 s4, s8
	s_cbranch_scc0 .LBB16_5
.LBB16_3:                               ; =>This Inner Loop Header: Depth=1
	s_and_saveexec_b32 s9, vcc_lo
	s_cbranch_execz .LBB16_2
; %bb.4:                                ;   in Loop: Header=BB16_3 Depth=1
	v_mov_b32_e32 v4, s4
	s_wait_kmcnt 0x0
	s_mul_u64 s[10:11], s[0:1], s[4:5]
	global_load_b64 v[8:9], v4, s[2:3] scale_offset
	s_wait_xcnt 0x0
	v_lshl_add_u64 v[4:5], s[10:11], 4, v[2:3]
	global_load_b128 v[4:7], v[4:5], off
	s_wait_loadcnt 0x1
	v_add_nc_u64_e32 v[8:9], s[6:7], v[8:9]
	s_delay_alu instid0(VALU_DEP_1)
	v_lshl_add_u64 v[8:9], v[0:1], 4, v[8:9]
	s_wait_loadcnt 0x0
	flat_store_b128 v[8:9], v[4:7]
	s_branch .LBB16_2
.LBB16_5:
	s_endpgm
	.section	.rodata,"a",@progbits
	.p2align	6, 0x0
	.amdhsa_kernel _ZL19rocblas_copy_kernelIiLi256EP19rocblas_complex_numIdEPKS2_EviT1_lT_lT2_lS6_li
		.amdhsa_group_segment_fixed_size 0
		.amdhsa_private_segment_fixed_size 0
		.amdhsa_kernarg_size 76
		.amdhsa_user_sgpr_count 2
		.amdhsa_user_sgpr_dispatch_ptr 0
		.amdhsa_user_sgpr_queue_ptr 0
		.amdhsa_user_sgpr_kernarg_segment_ptr 1
		.amdhsa_user_sgpr_dispatch_id 0
		.amdhsa_user_sgpr_kernarg_preload_length 0
		.amdhsa_user_sgpr_kernarg_preload_offset 0
		.amdhsa_user_sgpr_private_segment_size 0
		.amdhsa_wavefront_size32 1
		.amdhsa_uses_dynamic_stack 0
		.amdhsa_enable_private_segment 0
		.amdhsa_system_sgpr_workgroup_id_x 1
		.amdhsa_system_sgpr_workgroup_id_y 0
		.amdhsa_system_sgpr_workgroup_id_z 1
		.amdhsa_system_sgpr_workgroup_info 0
		.amdhsa_system_vgpr_workitem_id 0
		.amdhsa_next_free_vgpr 10
		.amdhsa_next_free_sgpr 19
		.amdhsa_named_barrier_count 0
		.amdhsa_reserve_vcc 1
		.amdhsa_float_round_mode_32 0
		.amdhsa_float_round_mode_16_64 0
		.amdhsa_float_denorm_mode_32 3
		.amdhsa_float_denorm_mode_16_64 3
		.amdhsa_fp16_overflow 0
		.amdhsa_memory_ordered 1
		.amdhsa_forward_progress 1
		.amdhsa_inst_pref_size 3
		.amdhsa_round_robin_scheduling 0
		.amdhsa_exception_fp_ieee_invalid_op 0
		.amdhsa_exception_fp_denorm_src 0
		.amdhsa_exception_fp_ieee_div_zero 0
		.amdhsa_exception_fp_ieee_overflow 0
		.amdhsa_exception_fp_ieee_underflow 0
		.amdhsa_exception_fp_ieee_inexact 0
		.amdhsa_exception_int_div_zero 0
	.end_amdhsa_kernel
	.section	.text._ZL19rocblas_copy_kernelIiLi256EP19rocblas_complex_numIdEPKS2_EviT1_lT_lT2_lS6_li,"axG",@progbits,_ZL19rocblas_copy_kernelIiLi256EP19rocblas_complex_numIdEPKS2_EviT1_lT_lT2_lS6_li,comdat
.Lfunc_end16:
	.size	_ZL19rocblas_copy_kernelIiLi256EP19rocblas_complex_numIdEPKS2_EviT1_lT_lT2_lS6_li, .Lfunc_end16-_ZL19rocblas_copy_kernelIiLi256EP19rocblas_complex_numIdEPKS2_EviT1_lT_lT2_lS6_li
                                        ; -- End function
	.set _ZL19rocblas_copy_kernelIiLi256EP19rocblas_complex_numIdEPKS2_EviT1_lT_lT2_lS6_li.num_vgpr, 10
	.set _ZL19rocblas_copy_kernelIiLi256EP19rocblas_complex_numIdEPKS2_EviT1_lT_lT2_lS6_li.num_agpr, 0
	.set _ZL19rocblas_copy_kernelIiLi256EP19rocblas_complex_numIdEPKS2_EviT1_lT_lT2_lS6_li.numbered_sgpr, 19
	.set _ZL19rocblas_copy_kernelIiLi256EP19rocblas_complex_numIdEPKS2_EviT1_lT_lT2_lS6_li.num_named_barrier, 0
	.set _ZL19rocblas_copy_kernelIiLi256EP19rocblas_complex_numIdEPKS2_EviT1_lT_lT2_lS6_li.private_seg_size, 0
	.set _ZL19rocblas_copy_kernelIiLi256EP19rocblas_complex_numIdEPKS2_EviT1_lT_lT2_lS6_li.uses_vcc, 1
	.set _ZL19rocblas_copy_kernelIiLi256EP19rocblas_complex_numIdEPKS2_EviT1_lT_lT2_lS6_li.uses_flat_scratch, 0
	.set _ZL19rocblas_copy_kernelIiLi256EP19rocblas_complex_numIdEPKS2_EviT1_lT_lT2_lS6_li.has_dyn_sized_stack, 0
	.set _ZL19rocblas_copy_kernelIiLi256EP19rocblas_complex_numIdEPKS2_EviT1_lT_lT2_lS6_li.has_recursion, 0
	.set _ZL19rocblas_copy_kernelIiLi256EP19rocblas_complex_numIdEPKS2_EviT1_lT_lT2_lS6_li.has_indirect_call, 0
	.section	.AMDGPU.csdata,"",@progbits
; Kernel info:
; codeLenInByte = 352
; TotalNumSgprs: 21
; NumVgprs: 10
; ScratchSize: 0
; MemoryBound: 0
; FloatMode: 240
; IeeeMode: 1
; LDSByteSize: 0 bytes/workgroup (compile time only)
; SGPRBlocks: 0
; VGPRBlocks: 0
; NumSGPRsForWavesPerEU: 21
; NumVGPRsForWavesPerEU: 10
; NamedBarCnt: 0
; Occupancy: 16
; WaveLimiterHint : 1
; COMPUTE_PGM_RSRC2:SCRATCH_EN: 0
; COMPUTE_PGM_RSRC2:USER_SGPR: 2
; COMPUTE_PGM_RSRC2:TRAP_HANDLER: 0
; COMPUTE_PGM_RSRC2:TGID_X_EN: 1
; COMPUTE_PGM_RSRC2:TGID_Y_EN: 0
; COMPUTE_PGM_RSRC2:TGID_Z_EN: 1
; COMPUTE_PGM_RSRC2:TIDIG_COMP_CNT: 0
	.section	.text._ZL19rocblas_copy_kernelIlLi256EPfS0_EviT1_lT_lT2_lS2_li,"axG",@progbits,_ZL19rocblas_copy_kernelIlLi256EPfS0_EviT1_lT_lT2_lS2_li,comdat
	.globl	_ZL19rocblas_copy_kernelIlLi256EPfS0_EviT1_lT_lT2_lS2_li ; -- Begin function _ZL19rocblas_copy_kernelIlLi256EPfS0_EviT1_lT_lT2_lS2_li
	.p2align	8
	.type	_ZL19rocblas_copy_kernelIlLi256EPfS0_EviT1_lT_lT2_lS2_li,@function
_ZL19rocblas_copy_kernelIlLi256EPfS0_EviT1_lT_lT2_lS2_li: ; @_ZL19rocblas_copy_kernelIlLi256EPfS0_EviT1_lT_lT2_lS2_li
; %bb.0:
	s_load_b32 s20, s[0:1], 0x48
	s_bfe_u32 s2, ttmp6, 0x40014
	s_lshr_b32 s3, ttmp7, 16
	s_add_co_i32 s2, s2, 1
	s_bfe_u32 s4, ttmp6, 0x40008
	s_mul_i32 s2, s3, s2
	s_getreg_b32 s21, hwreg(HW_REG_IB_STS2, 6, 4)
	s_add_co_i32 s4, s4, s2
	s_cmp_eq_u32 s21, 0
	s_cselect_b32 s2, s3, s4
	s_mov_b32 s3, 0
	s_wait_kmcnt 0x0
	s_cmp_ge_u32 s2, s20
	s_cbranch_scc1 .LBB17_5
; %bb.1:
	s_clause 0x1
	s_load_b32 s22, s[0:1], 0x0
	s_load_b512 s[4:19], s[0:1], 0x8
	s_wait_xcnt 0x0
	s_bfe_u32 s0, ttmp6, 0x4000c
	s_and_b32 s1, ttmp6, 15
	s_add_co_i32 s0, s0, 1
	v_mov_b32_e32 v1, 0
	s_mul_i32 s0, ttmp9, s0
	s_delay_alu instid0(SALU_CYCLE_1)
	s_add_co_i32 s24, s1, s0
	s_wait_kmcnt 0x0
	s_ashr_i32 s23, s22, 31
	s_lshl_b64 s[0:1], s[6:7], 2
	s_lshl_b64 s[6:7], s[14:15], 2
	s_cmp_eq_u32 s21, 0
	s_add_nc_u64 s[0:1], s[4:5], s[0:1]
	s_cselect_b32 s14, ttmp9, s24
	s_add_nc_u64 s[4:5], s[12:13], s[6:7]
	v_lshl_or_b32 v0, s14, 8, v0
	s_delay_alu instid0(VALU_DEP_1) | instskip(SKIP_2) | instid1(VALU_DEP_3)
	v_mul_u64_e32 v[2:3], s[8:9], v[0:1]
	v_mul_u64_e32 v[4:5], s[16:17], v[0:1]
	v_cmp_gt_i64_e32 vcc_lo, s[22:23], v[0:1]
	v_lshl_add_u64 v[0:1], v[2:3], 2, s[0:1]
	s_delay_alu instid0(VALU_DEP_3)
	v_lshl_add_u64 v[2:3], v[4:5], 2, s[4:5]
	s_branch .LBB17_3
.LBB17_2:                               ;   in Loop: Header=BB17_3 Depth=1
	s_wait_xcnt 0x0
	s_or_b32 exec_lo, exec_lo, s0
	s_add_co_i32 s2, s2, 0x10000
	s_delay_alu instid0(SALU_CYCLE_1)
	s_cmp_lt_u32 s2, s20
	s_cbranch_scc0 .LBB17_5
.LBB17_3:                               ; =>This Inner Loop Header: Depth=1
	s_and_saveexec_b32 s0, vcc_lo
	s_cbranch_execz .LBB17_2
; %bb.4:                                ;   in Loop: Header=BB17_3 Depth=1
	s_mul_u64 s[4:5], s[10:11], s[2:3]
	s_delay_alu instid0(SALU_CYCLE_1)
	v_lshl_add_u64 v[4:5], s[4:5], 2, v[0:1]
	s_mul_u64 s[4:5], s[18:19], s[2:3]
	global_load_b32 v6, v[4:5], off
	s_wait_xcnt 0x0
	v_lshl_add_u64 v[4:5], s[4:5], 2, v[2:3]
	s_wait_loadcnt 0x0
	global_store_b32 v[4:5], v6, off
	s_branch .LBB17_2
.LBB17_5:
	s_endpgm
	.section	.rodata,"a",@progbits
	.p2align	6, 0x0
	.amdhsa_kernel _ZL19rocblas_copy_kernelIlLi256EPfS0_EviT1_lT_lT2_lS2_li
		.amdhsa_group_segment_fixed_size 0
		.amdhsa_private_segment_fixed_size 0
		.amdhsa_kernarg_size 76
		.amdhsa_user_sgpr_count 2
		.amdhsa_user_sgpr_dispatch_ptr 0
		.amdhsa_user_sgpr_queue_ptr 0
		.amdhsa_user_sgpr_kernarg_segment_ptr 1
		.amdhsa_user_sgpr_dispatch_id 0
		.amdhsa_user_sgpr_kernarg_preload_length 0
		.amdhsa_user_sgpr_kernarg_preload_offset 0
		.amdhsa_user_sgpr_private_segment_size 0
		.amdhsa_wavefront_size32 1
		.amdhsa_uses_dynamic_stack 0
		.amdhsa_enable_private_segment 0
		.amdhsa_system_sgpr_workgroup_id_x 1
		.amdhsa_system_sgpr_workgroup_id_y 0
		.amdhsa_system_sgpr_workgroup_id_z 1
		.amdhsa_system_sgpr_workgroup_info 0
		.amdhsa_system_vgpr_workitem_id 0
		.amdhsa_next_free_vgpr 7
		.amdhsa_next_free_sgpr 25
		.amdhsa_named_barrier_count 0
		.amdhsa_reserve_vcc 1
		.amdhsa_float_round_mode_32 0
		.amdhsa_float_round_mode_16_64 0
		.amdhsa_float_denorm_mode_32 3
		.amdhsa_float_denorm_mode_16_64 3
		.amdhsa_fp16_overflow 0
		.amdhsa_memory_ordered 1
		.amdhsa_forward_progress 1
		.amdhsa_inst_pref_size 3
		.amdhsa_round_robin_scheduling 0
		.amdhsa_exception_fp_ieee_invalid_op 0
		.amdhsa_exception_fp_denorm_src 0
		.amdhsa_exception_fp_ieee_div_zero 0
		.amdhsa_exception_fp_ieee_overflow 0
		.amdhsa_exception_fp_ieee_underflow 0
		.amdhsa_exception_fp_ieee_inexact 0
		.amdhsa_exception_int_div_zero 0
	.end_amdhsa_kernel
	.section	.text._ZL19rocblas_copy_kernelIlLi256EPfS0_EviT1_lT_lT2_lS2_li,"axG",@progbits,_ZL19rocblas_copy_kernelIlLi256EPfS0_EviT1_lT_lT2_lS2_li,comdat
.Lfunc_end17:
	.size	_ZL19rocblas_copy_kernelIlLi256EPfS0_EviT1_lT_lT2_lS2_li, .Lfunc_end17-_ZL19rocblas_copy_kernelIlLi256EPfS0_EviT1_lT_lT2_lS2_li
                                        ; -- End function
	.set _ZL19rocblas_copy_kernelIlLi256EPfS0_EviT1_lT_lT2_lS2_li.num_vgpr, 7
	.set _ZL19rocblas_copy_kernelIlLi256EPfS0_EviT1_lT_lT2_lS2_li.num_agpr, 0
	.set _ZL19rocblas_copy_kernelIlLi256EPfS0_EviT1_lT_lT2_lS2_li.numbered_sgpr, 25
	.set _ZL19rocblas_copy_kernelIlLi256EPfS0_EviT1_lT_lT2_lS2_li.num_named_barrier, 0
	.set _ZL19rocblas_copy_kernelIlLi256EPfS0_EviT1_lT_lT2_lS2_li.private_seg_size, 0
	.set _ZL19rocblas_copy_kernelIlLi256EPfS0_EviT1_lT_lT2_lS2_li.uses_vcc, 1
	.set _ZL19rocblas_copy_kernelIlLi256EPfS0_EviT1_lT_lT2_lS2_li.uses_flat_scratch, 0
	.set _ZL19rocblas_copy_kernelIlLi256EPfS0_EviT1_lT_lT2_lS2_li.has_dyn_sized_stack, 0
	.set _ZL19rocblas_copy_kernelIlLi256EPfS0_EviT1_lT_lT2_lS2_li.has_recursion, 0
	.set _ZL19rocblas_copy_kernelIlLi256EPfS0_EviT1_lT_lT2_lS2_li.has_indirect_call, 0
	.section	.AMDGPU.csdata,"",@progbits
; Kernel info:
; codeLenInByte = 308
; TotalNumSgprs: 27
; NumVgprs: 7
; ScratchSize: 0
; MemoryBound: 0
; FloatMode: 240
; IeeeMode: 1
; LDSByteSize: 0 bytes/workgroup (compile time only)
; SGPRBlocks: 0
; VGPRBlocks: 0
; NumSGPRsForWavesPerEU: 27
; NumVGPRsForWavesPerEU: 7
; NamedBarCnt: 0
; Occupancy: 16
; WaveLimiterHint : 0
; COMPUTE_PGM_RSRC2:SCRATCH_EN: 0
; COMPUTE_PGM_RSRC2:USER_SGPR: 2
; COMPUTE_PGM_RSRC2:TRAP_HANDLER: 0
; COMPUTE_PGM_RSRC2:TGID_X_EN: 1
; COMPUTE_PGM_RSRC2:TGID_Y_EN: 0
; COMPUTE_PGM_RSRC2:TGID_Z_EN: 1
; COMPUTE_PGM_RSRC2:TIDIG_COMP_CNT: 0
	.section	.text._ZL22rocblas_scopy_2_kernelILi256EPfS0_EviT0_llT1_lli,"axG",@progbits,_ZL22rocblas_scopy_2_kernelILi256EPfS0_EviT0_llT1_lli,comdat
	.globl	_ZL22rocblas_scopy_2_kernelILi256EPfS0_EviT0_llT1_lli ; -- Begin function _ZL22rocblas_scopy_2_kernelILi256EPfS0_EviT0_llT1_lli
	.p2align	8
	.type	_ZL22rocblas_scopy_2_kernelILi256EPfS0_EviT0_llT1_lli,@function
_ZL22rocblas_scopy_2_kernelILi256EPfS0_EviT0_llT1_lli: ; @_ZL22rocblas_scopy_2_kernelILi256EPfS0_EviT0_llT1_lli
; %bb.0:
	s_load_b32 s12, s[0:1], 0x38
	s_bfe_u32 s2, ttmp6, 0x40014
	s_lshr_b32 s3, ttmp7, 16
	s_add_co_i32 s2, s2, 1
	s_bfe_u32 s4, ttmp6, 0x40008
	s_mul_i32 s2, s3, s2
	s_getreg_b32 s13, hwreg(HW_REG_IB_STS2, 6, 4)
	s_add_co_i32 s4, s4, s2
	s_cmp_eq_u32 s13, 0
	s_cselect_b32 s2, s3, s4
	s_mov_b32 s3, 0
	s_wait_kmcnt 0x0
	s_cmp_ge_u32 s2, s12
	s_cbranch_scc1 .LBB18_7
; %bb.1:
	s_clause 0x3
	s_load_b32 s20, s[0:1], 0x0
	s_load_b128 s[4:7], s[0:1], 0x10
	s_load_b128 s[8:11], s[0:1], 0x28
	s_load_b64 s[14:15], s[0:1], 0x8
	s_bfe_u32 s18, ttmp6, 0x4000c
	s_load_b64 s[16:17], s[0:1], 0x20
	s_add_co_i32 s18, s18, 1
	s_wait_xcnt 0x0
	s_and_b32 s0, ttmp6, 15
	s_mul_i32 s1, ttmp9, s18
	v_dual_mov_b32 v1, 0 :: v_dual_lshlrev_b32 v0, 1, v0
	s_add_co_i32 s0, s0, s1
	s_cmp_eq_u32 s13, 0
	s_cselect_b32 s0, ttmp9, s0
	s_delay_alu instid0(VALU_DEP_1) | instid1(SALU_CYCLE_1)
	v_lshl_or_b32 v0, s0, 9, v0
	s_wait_kmcnt 0x0
	s_add_co_i32 s18, s20, -1
	s_lshl_b64 s[4:5], s[4:5], 2
	s_ashr_i32 s19, s18, 31
	s_lshl_b64 s[8:9], s[8:9], 2
	v_cmp_eq_u64_e64 s0, s[18:19], v[0:1]
	v_cmp_gt_i64_e32 vcc_lo, s[18:19], v[0:1]
	v_lshlrev_b64_e32 v[0:1], 2, v[0:1]
	s_bitcmp1_b32 s20, 0
	s_add_nc_u64 s[4:5], s[14:15], s[4:5]
	s_cselect_b32 s1, -1, 0
	s_add_nc_u64 s[8:9], s[16:17], s[8:9]
	s_and_b32 s0, s1, s0
	s_branch .LBB18_3
.LBB18_2:                               ;   in Loop: Header=BB18_3 Depth=1
	s_wait_xcnt 0x0
	s_or_b32 exec_lo, exec_lo, s1
	s_add_co_i32 s2, s2, 0x10000
	s_delay_alu instid0(SALU_CYCLE_1)
	s_cmp_lt_u32 s2, s12
	s_cbranch_scc0 .LBB18_7
.LBB18_3:                               ; =>This Inner Loop Header: Depth=1
	s_mul_u64 s[14:15], s[6:7], s[2:3]
	s_mul_u64 s[16:17], s[10:11], s[2:3]
	s_lshl_b64 s[14:15], s[14:15], 2
	s_lshl_b64 s[16:17], s[16:17], 2
	s_add_nc_u64 s[14:15], s[4:5], s[14:15]
	s_add_nc_u64 s[16:17], s[8:9], s[16:17]
	v_add_nc_u64_e32 v[2:3], s[14:15], v[0:1]
	v_add_nc_u64_e32 v[4:5], s[16:17], v[0:1]
	s_and_saveexec_b32 s1, vcc_lo
	s_cbranch_execnz .LBB18_5
; %bb.4:                                ;   in Loop: Header=BB18_3 Depth=1
	s_or_b32 exec_lo, exec_lo, s1
	s_and_saveexec_b32 s1, s0
	s_cbranch_execz .LBB18_2
	s_branch .LBB18_6
.LBB18_5:                               ;   in Loop: Header=BB18_3 Depth=1
	global_load_b64 v[6:7], v[2:3], off
	s_wait_loadcnt 0x0
	global_store_b64 v[4:5], v[6:7], off
	s_wait_xcnt 0x0
	s_or_b32 exec_lo, exec_lo, s1
	s_and_saveexec_b32 s1, s0
	s_cbranch_execz .LBB18_2
.LBB18_6:                               ;   in Loop: Header=BB18_3 Depth=1
	global_load_b32 v2, v[2:3], off
	s_wait_loadcnt 0x0
	global_store_b32 v[4:5], v2, off
	s_branch .LBB18_2
.LBB18_7:
	s_endpgm
	.section	.rodata,"a",@progbits
	.p2align	6, 0x0
	.amdhsa_kernel _ZL22rocblas_scopy_2_kernelILi256EPfS0_EviT0_llT1_lli
		.amdhsa_group_segment_fixed_size 0
		.amdhsa_private_segment_fixed_size 0
		.amdhsa_kernarg_size 60
		.amdhsa_user_sgpr_count 2
		.amdhsa_user_sgpr_dispatch_ptr 0
		.amdhsa_user_sgpr_queue_ptr 0
		.amdhsa_user_sgpr_kernarg_segment_ptr 1
		.amdhsa_user_sgpr_dispatch_id 0
		.amdhsa_user_sgpr_kernarg_preload_length 0
		.amdhsa_user_sgpr_kernarg_preload_offset 0
		.amdhsa_user_sgpr_private_segment_size 0
		.amdhsa_wavefront_size32 1
		.amdhsa_uses_dynamic_stack 0
		.amdhsa_enable_private_segment 0
		.amdhsa_system_sgpr_workgroup_id_x 1
		.amdhsa_system_sgpr_workgroup_id_y 0
		.amdhsa_system_sgpr_workgroup_id_z 1
		.amdhsa_system_sgpr_workgroup_info 0
		.amdhsa_system_vgpr_workitem_id 0
		.amdhsa_next_free_vgpr 8
		.amdhsa_next_free_sgpr 21
		.amdhsa_named_barrier_count 0
		.amdhsa_reserve_vcc 1
		.amdhsa_float_round_mode_32 0
		.amdhsa_float_round_mode_16_64 0
		.amdhsa_float_denorm_mode_32 3
		.amdhsa_float_denorm_mode_16_64 3
		.amdhsa_fp16_overflow 0
		.amdhsa_memory_ordered 1
		.amdhsa_forward_progress 1
		.amdhsa_inst_pref_size 4
		.amdhsa_round_robin_scheduling 0
		.amdhsa_exception_fp_ieee_invalid_op 0
		.amdhsa_exception_fp_denorm_src 0
		.amdhsa_exception_fp_ieee_div_zero 0
		.amdhsa_exception_fp_ieee_overflow 0
		.amdhsa_exception_fp_ieee_underflow 0
		.amdhsa_exception_fp_ieee_inexact 0
		.amdhsa_exception_int_div_zero 0
	.end_amdhsa_kernel
	.section	.text._ZL22rocblas_scopy_2_kernelILi256EPfS0_EviT0_llT1_lli,"axG",@progbits,_ZL22rocblas_scopy_2_kernelILi256EPfS0_EviT0_llT1_lli,comdat
.Lfunc_end18:
	.size	_ZL22rocblas_scopy_2_kernelILi256EPfS0_EviT0_llT1_lli, .Lfunc_end18-_ZL22rocblas_scopy_2_kernelILi256EPfS0_EviT0_llT1_lli
                                        ; -- End function
	.set _ZL22rocblas_scopy_2_kernelILi256EPfS0_EviT0_llT1_lli.num_vgpr, 8
	.set _ZL22rocblas_scopy_2_kernelILi256EPfS0_EviT0_llT1_lli.num_agpr, 0
	.set _ZL22rocblas_scopy_2_kernelILi256EPfS0_EviT0_llT1_lli.numbered_sgpr, 21
	.set _ZL22rocblas_scopy_2_kernelILi256EPfS0_EviT0_llT1_lli.num_named_barrier, 0
	.set _ZL22rocblas_scopy_2_kernelILi256EPfS0_EviT0_llT1_lli.private_seg_size, 0
	.set _ZL22rocblas_scopy_2_kernelILi256EPfS0_EviT0_llT1_lli.uses_vcc, 1
	.set _ZL22rocblas_scopy_2_kernelILi256EPfS0_EviT0_llT1_lli.uses_flat_scratch, 0
	.set _ZL22rocblas_scopy_2_kernelILi256EPfS0_EviT0_llT1_lli.has_dyn_sized_stack, 0
	.set _ZL22rocblas_scopy_2_kernelILi256EPfS0_EviT0_llT1_lli.has_recursion, 0
	.set _ZL22rocblas_scopy_2_kernelILi256EPfS0_EviT0_llT1_lli.has_indirect_call, 0
	.section	.AMDGPU.csdata,"",@progbits
; Kernel info:
; codeLenInByte = 392
; TotalNumSgprs: 23
; NumVgprs: 8
; ScratchSize: 0
; MemoryBound: 0
; FloatMode: 240
; IeeeMode: 1
; LDSByteSize: 0 bytes/workgroup (compile time only)
; SGPRBlocks: 0
; VGPRBlocks: 0
; NumSGPRsForWavesPerEU: 23
; NumVGPRsForWavesPerEU: 8
; NamedBarCnt: 0
; Occupancy: 16
; WaveLimiterHint : 0
; COMPUTE_PGM_RSRC2:SCRATCH_EN: 0
; COMPUTE_PGM_RSRC2:USER_SGPR: 2
; COMPUTE_PGM_RSRC2:TRAP_HANDLER: 0
; COMPUTE_PGM_RSRC2:TGID_X_EN: 1
; COMPUTE_PGM_RSRC2:TGID_Y_EN: 0
; COMPUTE_PGM_RSRC2:TGID_Z_EN: 1
; COMPUTE_PGM_RSRC2:TIDIG_COMP_CNT: 0
	.section	.text._ZL19rocblas_copy_kernelIlLi256EPdS0_EviT1_lT_lT2_lS2_li,"axG",@progbits,_ZL19rocblas_copy_kernelIlLi256EPdS0_EviT1_lT_lT2_lS2_li,comdat
	.globl	_ZL19rocblas_copy_kernelIlLi256EPdS0_EviT1_lT_lT2_lS2_li ; -- Begin function _ZL19rocblas_copy_kernelIlLi256EPdS0_EviT1_lT_lT2_lS2_li
	.p2align	8
	.type	_ZL19rocblas_copy_kernelIlLi256EPdS0_EviT1_lT_lT2_lS2_li,@function
_ZL19rocblas_copy_kernelIlLi256EPdS0_EviT1_lT_lT2_lS2_li: ; @_ZL19rocblas_copy_kernelIlLi256EPdS0_EviT1_lT_lT2_lS2_li
; %bb.0:
	s_load_b32 s20, s[0:1], 0x48
	s_bfe_u32 s2, ttmp6, 0x40014
	s_lshr_b32 s3, ttmp7, 16
	s_add_co_i32 s2, s2, 1
	s_bfe_u32 s4, ttmp6, 0x40008
	s_mul_i32 s2, s3, s2
	s_getreg_b32 s21, hwreg(HW_REG_IB_STS2, 6, 4)
	s_add_co_i32 s4, s4, s2
	s_cmp_eq_u32 s21, 0
	s_cselect_b32 s2, s3, s4
	s_mov_b32 s3, 0
	s_wait_kmcnt 0x0
	s_cmp_ge_u32 s2, s20
	s_cbranch_scc1 .LBB19_5
; %bb.1:
	s_clause 0x1
	s_load_b32 s22, s[0:1], 0x0
	s_load_b512 s[4:19], s[0:1], 0x8
	s_wait_xcnt 0x0
	s_bfe_u32 s0, ttmp6, 0x4000c
	s_and_b32 s1, ttmp6, 15
	s_add_co_i32 s0, s0, 1
	v_mov_b32_e32 v1, 0
	s_mul_i32 s0, ttmp9, s0
	s_delay_alu instid0(SALU_CYCLE_1)
	s_add_co_i32 s24, s1, s0
	s_wait_kmcnt 0x0
	s_ashr_i32 s23, s22, 31
	s_lshl_b64 s[0:1], s[6:7], 3
	s_lshl_b64 s[6:7], s[14:15], 3
	s_cmp_eq_u32 s21, 0
	s_add_nc_u64 s[0:1], s[4:5], s[0:1]
	s_cselect_b32 s14, ttmp9, s24
	s_add_nc_u64 s[4:5], s[12:13], s[6:7]
	v_lshl_or_b32 v0, s14, 8, v0
	s_delay_alu instid0(VALU_DEP_1) | instskip(SKIP_2) | instid1(VALU_DEP_3)
	v_mul_u64_e32 v[2:3], s[8:9], v[0:1]
	v_mul_u64_e32 v[4:5], s[16:17], v[0:1]
	v_cmp_gt_i64_e32 vcc_lo, s[22:23], v[0:1]
	v_lshl_add_u64 v[0:1], v[2:3], 3, s[0:1]
	s_delay_alu instid0(VALU_DEP_3)
	v_lshl_add_u64 v[2:3], v[4:5], 3, s[4:5]
	s_branch .LBB19_3
.LBB19_2:                               ;   in Loop: Header=BB19_3 Depth=1
	s_wait_xcnt 0x0
	s_or_b32 exec_lo, exec_lo, s0
	s_add_co_i32 s2, s2, 0x10000
	s_delay_alu instid0(SALU_CYCLE_1)
	s_cmp_lt_u32 s2, s20
	s_cbranch_scc0 .LBB19_5
.LBB19_3:                               ; =>This Inner Loop Header: Depth=1
	s_and_saveexec_b32 s0, vcc_lo
	s_cbranch_execz .LBB19_2
; %bb.4:                                ;   in Loop: Header=BB19_3 Depth=1
	s_mul_u64 s[4:5], s[10:11], s[2:3]
	s_delay_alu instid0(SALU_CYCLE_1) | instskip(SKIP_1) | instid1(SALU_CYCLE_1)
	v_lshl_add_u64 v[4:5], s[4:5], 3, v[0:1]
	s_mul_u64 s[4:5], s[18:19], s[2:3]
	v_lshl_add_u64 v[6:7], s[4:5], 3, v[2:3]
	global_load_b64 v[4:5], v[4:5], off
	s_wait_loadcnt 0x0
	global_store_b64 v[6:7], v[4:5], off
	s_branch .LBB19_2
.LBB19_5:
	s_endpgm
	.section	.rodata,"a",@progbits
	.p2align	6, 0x0
	.amdhsa_kernel _ZL19rocblas_copy_kernelIlLi256EPdS0_EviT1_lT_lT2_lS2_li
		.amdhsa_group_segment_fixed_size 0
		.amdhsa_private_segment_fixed_size 0
		.amdhsa_kernarg_size 76
		.amdhsa_user_sgpr_count 2
		.amdhsa_user_sgpr_dispatch_ptr 0
		.amdhsa_user_sgpr_queue_ptr 0
		.amdhsa_user_sgpr_kernarg_segment_ptr 1
		.amdhsa_user_sgpr_dispatch_id 0
		.amdhsa_user_sgpr_kernarg_preload_length 0
		.amdhsa_user_sgpr_kernarg_preload_offset 0
		.amdhsa_user_sgpr_private_segment_size 0
		.amdhsa_wavefront_size32 1
		.amdhsa_uses_dynamic_stack 0
		.amdhsa_enable_private_segment 0
		.amdhsa_system_sgpr_workgroup_id_x 1
		.amdhsa_system_sgpr_workgroup_id_y 0
		.amdhsa_system_sgpr_workgroup_id_z 1
		.amdhsa_system_sgpr_workgroup_info 0
		.amdhsa_system_vgpr_workitem_id 0
		.amdhsa_next_free_vgpr 8
		.amdhsa_next_free_sgpr 25
		.amdhsa_named_barrier_count 0
		.amdhsa_reserve_vcc 1
		.amdhsa_float_round_mode_32 0
		.amdhsa_float_round_mode_16_64 0
		.amdhsa_float_denorm_mode_32 3
		.amdhsa_float_denorm_mode_16_64 3
		.amdhsa_fp16_overflow 0
		.amdhsa_memory_ordered 1
		.amdhsa_forward_progress 1
		.amdhsa_inst_pref_size 3
		.amdhsa_round_robin_scheduling 0
		.amdhsa_exception_fp_ieee_invalid_op 0
		.amdhsa_exception_fp_denorm_src 0
		.amdhsa_exception_fp_ieee_div_zero 0
		.amdhsa_exception_fp_ieee_overflow 0
		.amdhsa_exception_fp_ieee_underflow 0
		.amdhsa_exception_fp_ieee_inexact 0
		.amdhsa_exception_int_div_zero 0
	.end_amdhsa_kernel
	.section	.text._ZL19rocblas_copy_kernelIlLi256EPdS0_EviT1_lT_lT2_lS2_li,"axG",@progbits,_ZL19rocblas_copy_kernelIlLi256EPdS0_EviT1_lT_lT2_lS2_li,comdat
.Lfunc_end19:
	.size	_ZL19rocblas_copy_kernelIlLi256EPdS0_EviT1_lT_lT2_lS2_li, .Lfunc_end19-_ZL19rocblas_copy_kernelIlLi256EPdS0_EviT1_lT_lT2_lS2_li
                                        ; -- End function
	.set _ZL19rocblas_copy_kernelIlLi256EPdS0_EviT1_lT_lT2_lS2_li.num_vgpr, 8
	.set _ZL19rocblas_copy_kernelIlLi256EPdS0_EviT1_lT_lT2_lS2_li.num_agpr, 0
	.set _ZL19rocblas_copy_kernelIlLi256EPdS0_EviT1_lT_lT2_lS2_li.numbered_sgpr, 25
	.set _ZL19rocblas_copy_kernelIlLi256EPdS0_EviT1_lT_lT2_lS2_li.num_named_barrier, 0
	.set _ZL19rocblas_copy_kernelIlLi256EPdS0_EviT1_lT_lT2_lS2_li.private_seg_size, 0
	.set _ZL19rocblas_copy_kernelIlLi256EPdS0_EviT1_lT_lT2_lS2_li.uses_vcc, 1
	.set _ZL19rocblas_copy_kernelIlLi256EPdS0_EviT1_lT_lT2_lS2_li.uses_flat_scratch, 0
	.set _ZL19rocblas_copy_kernelIlLi256EPdS0_EviT1_lT_lT2_lS2_li.has_dyn_sized_stack, 0
	.set _ZL19rocblas_copy_kernelIlLi256EPdS0_EviT1_lT_lT2_lS2_li.has_recursion, 0
	.set _ZL19rocblas_copy_kernelIlLi256EPdS0_EviT1_lT_lT2_lS2_li.has_indirect_call, 0
	.section	.AMDGPU.csdata,"",@progbits
; Kernel info:
; codeLenInByte = 304
; TotalNumSgprs: 27
; NumVgprs: 8
; ScratchSize: 0
; MemoryBound: 0
; FloatMode: 240
; IeeeMode: 1
; LDSByteSize: 0 bytes/workgroup (compile time only)
; SGPRBlocks: 0
; VGPRBlocks: 0
; NumSGPRsForWavesPerEU: 27
; NumVGPRsForWavesPerEU: 8
; NamedBarCnt: 0
; Occupancy: 16
; WaveLimiterHint : 0
; COMPUTE_PGM_RSRC2:SCRATCH_EN: 0
; COMPUTE_PGM_RSRC2:USER_SGPR: 2
; COMPUTE_PGM_RSRC2:TRAP_HANDLER: 0
; COMPUTE_PGM_RSRC2:TGID_X_EN: 1
; COMPUTE_PGM_RSRC2:TGID_Y_EN: 0
; COMPUTE_PGM_RSRC2:TGID_Z_EN: 1
; COMPUTE_PGM_RSRC2:TIDIG_COMP_CNT: 0
	.section	.text._ZL19rocblas_copy_kernelIlLi256EP19rocblas_complex_numIfES2_EviT1_lT_lT2_lS4_li,"axG",@progbits,_ZL19rocblas_copy_kernelIlLi256EP19rocblas_complex_numIfES2_EviT1_lT_lT2_lS4_li,comdat
	.globl	_ZL19rocblas_copy_kernelIlLi256EP19rocblas_complex_numIfES2_EviT1_lT_lT2_lS4_li ; -- Begin function _ZL19rocblas_copy_kernelIlLi256EP19rocblas_complex_numIfES2_EviT1_lT_lT2_lS4_li
	.p2align	8
	.type	_ZL19rocblas_copy_kernelIlLi256EP19rocblas_complex_numIfES2_EviT1_lT_lT2_lS4_li,@function
_ZL19rocblas_copy_kernelIlLi256EP19rocblas_complex_numIfES2_EviT1_lT_lT2_lS4_li: ; @_ZL19rocblas_copy_kernelIlLi256EP19rocblas_complex_numIfES2_EviT1_lT_lT2_lS4_li
; %bb.0:
	s_load_b32 s20, s[0:1], 0x48
	s_bfe_u32 s2, ttmp6, 0x40014
	s_lshr_b32 s3, ttmp7, 16
	s_add_co_i32 s2, s2, 1
	s_bfe_u32 s4, ttmp6, 0x40008
	s_mul_i32 s2, s3, s2
	s_getreg_b32 s21, hwreg(HW_REG_IB_STS2, 6, 4)
	s_add_co_i32 s4, s4, s2
	s_cmp_eq_u32 s21, 0
	s_cselect_b32 s2, s3, s4
	s_mov_b32 s3, 0
	s_wait_kmcnt 0x0
	s_cmp_ge_u32 s2, s20
	s_cbranch_scc1 .LBB20_5
; %bb.1:
	s_clause 0x1
	s_load_b32 s22, s[0:1], 0x0
	s_load_b512 s[4:19], s[0:1], 0x8
	s_wait_xcnt 0x0
	s_bfe_u32 s0, ttmp6, 0x4000c
	s_and_b32 s1, ttmp6, 15
	s_add_co_i32 s0, s0, 1
	v_mov_b32_e32 v1, 0
	s_mul_i32 s0, ttmp9, s0
	s_delay_alu instid0(SALU_CYCLE_1)
	s_add_co_i32 s24, s1, s0
	s_wait_kmcnt 0x0
	s_ashr_i32 s23, s22, 31
	s_lshl_b64 s[0:1], s[6:7], 3
	s_lshl_b64 s[6:7], s[14:15], 3
	s_cmp_eq_u32 s21, 0
	s_add_nc_u64 s[0:1], s[4:5], s[0:1]
	s_cselect_b32 s14, ttmp9, s24
	s_add_nc_u64 s[4:5], s[12:13], s[6:7]
	v_lshl_or_b32 v0, s14, 8, v0
	s_delay_alu instid0(VALU_DEP_1) | instskip(SKIP_2) | instid1(VALU_DEP_3)
	v_mul_u64_e32 v[2:3], s[8:9], v[0:1]
	v_mul_u64_e32 v[4:5], s[16:17], v[0:1]
	v_cmp_gt_i64_e32 vcc_lo, s[22:23], v[0:1]
	v_lshl_add_u64 v[0:1], v[2:3], 3, s[0:1]
	s_delay_alu instid0(VALU_DEP_3)
	v_lshl_add_u64 v[2:3], v[4:5], 3, s[4:5]
	s_branch .LBB20_3
.LBB20_2:                               ;   in Loop: Header=BB20_3 Depth=1
	s_wait_xcnt 0x0
	s_or_b32 exec_lo, exec_lo, s0
	s_add_co_i32 s2, s2, 0x10000
	s_delay_alu instid0(SALU_CYCLE_1)
	s_cmp_lt_u32 s2, s20
	s_cbranch_scc0 .LBB20_5
.LBB20_3:                               ; =>This Inner Loop Header: Depth=1
	s_and_saveexec_b32 s0, vcc_lo
	s_cbranch_execz .LBB20_2
; %bb.4:                                ;   in Loop: Header=BB20_3 Depth=1
	s_mul_u64 s[4:5], s[10:11], s[2:3]
	s_delay_alu instid0(SALU_CYCLE_1) | instskip(SKIP_1) | instid1(SALU_CYCLE_1)
	v_lshl_add_u64 v[4:5], s[4:5], 3, v[0:1]
	s_mul_u64 s[4:5], s[18:19], s[2:3]
	v_lshl_add_u64 v[6:7], s[4:5], 3, v[2:3]
	global_load_b64 v[4:5], v[4:5], off
	s_wait_loadcnt 0x0
	global_store_b64 v[6:7], v[4:5], off
	s_branch .LBB20_2
.LBB20_5:
	s_endpgm
	.section	.rodata,"a",@progbits
	.p2align	6, 0x0
	.amdhsa_kernel _ZL19rocblas_copy_kernelIlLi256EP19rocblas_complex_numIfES2_EviT1_lT_lT2_lS4_li
		.amdhsa_group_segment_fixed_size 0
		.amdhsa_private_segment_fixed_size 0
		.amdhsa_kernarg_size 76
		.amdhsa_user_sgpr_count 2
		.amdhsa_user_sgpr_dispatch_ptr 0
		.amdhsa_user_sgpr_queue_ptr 0
		.amdhsa_user_sgpr_kernarg_segment_ptr 1
		.amdhsa_user_sgpr_dispatch_id 0
		.amdhsa_user_sgpr_kernarg_preload_length 0
		.amdhsa_user_sgpr_kernarg_preload_offset 0
		.amdhsa_user_sgpr_private_segment_size 0
		.amdhsa_wavefront_size32 1
		.amdhsa_uses_dynamic_stack 0
		.amdhsa_enable_private_segment 0
		.amdhsa_system_sgpr_workgroup_id_x 1
		.amdhsa_system_sgpr_workgroup_id_y 0
		.amdhsa_system_sgpr_workgroup_id_z 1
		.amdhsa_system_sgpr_workgroup_info 0
		.amdhsa_system_vgpr_workitem_id 0
		.amdhsa_next_free_vgpr 8
		.amdhsa_next_free_sgpr 25
		.amdhsa_named_barrier_count 0
		.amdhsa_reserve_vcc 1
		.amdhsa_float_round_mode_32 0
		.amdhsa_float_round_mode_16_64 0
		.amdhsa_float_denorm_mode_32 3
		.amdhsa_float_denorm_mode_16_64 3
		.amdhsa_fp16_overflow 0
		.amdhsa_memory_ordered 1
		.amdhsa_forward_progress 1
		.amdhsa_inst_pref_size 3
		.amdhsa_round_robin_scheduling 0
		.amdhsa_exception_fp_ieee_invalid_op 0
		.amdhsa_exception_fp_denorm_src 0
		.amdhsa_exception_fp_ieee_div_zero 0
		.amdhsa_exception_fp_ieee_overflow 0
		.amdhsa_exception_fp_ieee_underflow 0
		.amdhsa_exception_fp_ieee_inexact 0
		.amdhsa_exception_int_div_zero 0
	.end_amdhsa_kernel
	.section	.text._ZL19rocblas_copy_kernelIlLi256EP19rocblas_complex_numIfES2_EviT1_lT_lT2_lS4_li,"axG",@progbits,_ZL19rocblas_copy_kernelIlLi256EP19rocblas_complex_numIfES2_EviT1_lT_lT2_lS4_li,comdat
.Lfunc_end20:
	.size	_ZL19rocblas_copy_kernelIlLi256EP19rocblas_complex_numIfES2_EviT1_lT_lT2_lS4_li, .Lfunc_end20-_ZL19rocblas_copy_kernelIlLi256EP19rocblas_complex_numIfES2_EviT1_lT_lT2_lS4_li
                                        ; -- End function
	.set _ZL19rocblas_copy_kernelIlLi256EP19rocblas_complex_numIfES2_EviT1_lT_lT2_lS4_li.num_vgpr, 8
	.set _ZL19rocblas_copy_kernelIlLi256EP19rocblas_complex_numIfES2_EviT1_lT_lT2_lS4_li.num_agpr, 0
	.set _ZL19rocblas_copy_kernelIlLi256EP19rocblas_complex_numIfES2_EviT1_lT_lT2_lS4_li.numbered_sgpr, 25
	.set _ZL19rocblas_copy_kernelIlLi256EP19rocblas_complex_numIfES2_EviT1_lT_lT2_lS4_li.num_named_barrier, 0
	.set _ZL19rocblas_copy_kernelIlLi256EP19rocblas_complex_numIfES2_EviT1_lT_lT2_lS4_li.private_seg_size, 0
	.set _ZL19rocblas_copy_kernelIlLi256EP19rocblas_complex_numIfES2_EviT1_lT_lT2_lS4_li.uses_vcc, 1
	.set _ZL19rocblas_copy_kernelIlLi256EP19rocblas_complex_numIfES2_EviT1_lT_lT2_lS4_li.uses_flat_scratch, 0
	.set _ZL19rocblas_copy_kernelIlLi256EP19rocblas_complex_numIfES2_EviT1_lT_lT2_lS4_li.has_dyn_sized_stack, 0
	.set _ZL19rocblas_copy_kernelIlLi256EP19rocblas_complex_numIfES2_EviT1_lT_lT2_lS4_li.has_recursion, 0
	.set _ZL19rocblas_copy_kernelIlLi256EP19rocblas_complex_numIfES2_EviT1_lT_lT2_lS4_li.has_indirect_call, 0
	.section	.AMDGPU.csdata,"",@progbits
; Kernel info:
; codeLenInByte = 304
; TotalNumSgprs: 27
; NumVgprs: 8
; ScratchSize: 0
; MemoryBound: 0
; FloatMode: 240
; IeeeMode: 1
; LDSByteSize: 0 bytes/workgroup (compile time only)
; SGPRBlocks: 0
; VGPRBlocks: 0
; NumSGPRsForWavesPerEU: 27
; NumVGPRsForWavesPerEU: 8
; NamedBarCnt: 0
; Occupancy: 16
; WaveLimiterHint : 0
; COMPUTE_PGM_RSRC2:SCRATCH_EN: 0
; COMPUTE_PGM_RSRC2:USER_SGPR: 2
; COMPUTE_PGM_RSRC2:TRAP_HANDLER: 0
; COMPUTE_PGM_RSRC2:TGID_X_EN: 1
; COMPUTE_PGM_RSRC2:TGID_Y_EN: 0
; COMPUTE_PGM_RSRC2:TGID_Z_EN: 1
; COMPUTE_PGM_RSRC2:TIDIG_COMP_CNT: 0
	.section	.text._ZL19rocblas_copy_kernelIlLi256EP19rocblas_complex_numIdES2_EviT1_lT_lT2_lS4_li,"axG",@progbits,_ZL19rocblas_copy_kernelIlLi256EP19rocblas_complex_numIdES2_EviT1_lT_lT2_lS4_li,comdat
	.globl	_ZL19rocblas_copy_kernelIlLi256EP19rocblas_complex_numIdES2_EviT1_lT_lT2_lS4_li ; -- Begin function _ZL19rocblas_copy_kernelIlLi256EP19rocblas_complex_numIdES2_EviT1_lT_lT2_lS4_li
	.p2align	8
	.type	_ZL19rocblas_copy_kernelIlLi256EP19rocblas_complex_numIdES2_EviT1_lT_lT2_lS4_li,@function
_ZL19rocblas_copy_kernelIlLi256EP19rocblas_complex_numIdES2_EviT1_lT_lT2_lS4_li: ; @_ZL19rocblas_copy_kernelIlLi256EP19rocblas_complex_numIdES2_EviT1_lT_lT2_lS4_li
; %bb.0:
	s_load_b32 s20, s[0:1], 0x48
	s_bfe_u32 s2, ttmp6, 0x40014
	s_lshr_b32 s3, ttmp7, 16
	s_add_co_i32 s2, s2, 1
	s_bfe_u32 s4, ttmp6, 0x40008
	s_mul_i32 s2, s3, s2
	s_getreg_b32 s21, hwreg(HW_REG_IB_STS2, 6, 4)
	s_add_co_i32 s4, s4, s2
	s_cmp_eq_u32 s21, 0
	s_cselect_b32 s2, s3, s4
	s_mov_b32 s3, 0
	s_wait_kmcnt 0x0
	s_cmp_ge_u32 s2, s20
	s_cbranch_scc1 .LBB21_5
; %bb.1:
	s_clause 0x1
	s_load_b32 s22, s[0:1], 0x0
	s_load_b512 s[4:19], s[0:1], 0x8
	s_wait_xcnt 0x0
	s_bfe_u32 s0, ttmp6, 0x4000c
	s_and_b32 s1, ttmp6, 15
	s_add_co_i32 s0, s0, 1
	v_mov_b32_e32 v1, 0
	s_mul_i32 s0, ttmp9, s0
	s_delay_alu instid0(SALU_CYCLE_1)
	s_add_co_i32 s24, s1, s0
	s_wait_kmcnt 0x0
	s_ashr_i32 s23, s22, 31
	s_lshl_b64 s[0:1], s[6:7], 4
	s_lshl_b64 s[6:7], s[14:15], 4
	s_cmp_eq_u32 s21, 0
	s_add_nc_u64 s[0:1], s[4:5], s[0:1]
	s_cselect_b32 s14, ttmp9, s24
	s_add_nc_u64 s[4:5], s[12:13], s[6:7]
	v_lshl_or_b32 v0, s14, 8, v0
	s_delay_alu instid0(VALU_DEP_1) | instskip(SKIP_2) | instid1(VALU_DEP_3)
	v_mul_u64_e32 v[2:3], s[8:9], v[0:1]
	v_mul_u64_e32 v[4:5], s[16:17], v[0:1]
	v_cmp_gt_i64_e32 vcc_lo, s[22:23], v[0:1]
	v_lshl_add_u64 v[0:1], v[2:3], 4, s[0:1]
	s_delay_alu instid0(VALU_DEP_3)
	v_lshl_add_u64 v[2:3], v[4:5], 4, s[4:5]
	s_branch .LBB21_3
.LBB21_2:                               ;   in Loop: Header=BB21_3 Depth=1
	s_wait_xcnt 0x0
	s_or_b32 exec_lo, exec_lo, s0
	s_add_co_i32 s2, s2, 0x10000
	s_delay_alu instid0(SALU_CYCLE_1)
	s_cmp_lt_u32 s2, s20
	s_cbranch_scc0 .LBB21_5
.LBB21_3:                               ; =>This Inner Loop Header: Depth=1
	s_and_saveexec_b32 s0, vcc_lo
	s_cbranch_execz .LBB21_2
; %bb.4:                                ;   in Loop: Header=BB21_3 Depth=1
	s_mul_u64 s[4:5], s[10:11], s[2:3]
	s_delay_alu instid0(SALU_CYCLE_1) | instskip(SKIP_1) | instid1(SALU_CYCLE_1)
	v_lshl_add_u64 v[4:5], s[4:5], 4, v[0:1]
	s_mul_u64 s[4:5], s[18:19], s[2:3]
	v_lshl_add_u64 v[8:9], s[4:5], 4, v[2:3]
	global_load_b128 v[4:7], v[4:5], off
	s_wait_loadcnt 0x0
	global_store_b128 v[8:9], v[4:7], off
	s_branch .LBB21_2
.LBB21_5:
	s_endpgm
	.section	.rodata,"a",@progbits
	.p2align	6, 0x0
	.amdhsa_kernel _ZL19rocblas_copy_kernelIlLi256EP19rocblas_complex_numIdES2_EviT1_lT_lT2_lS4_li
		.amdhsa_group_segment_fixed_size 0
		.amdhsa_private_segment_fixed_size 0
		.amdhsa_kernarg_size 76
		.amdhsa_user_sgpr_count 2
		.amdhsa_user_sgpr_dispatch_ptr 0
		.amdhsa_user_sgpr_queue_ptr 0
		.amdhsa_user_sgpr_kernarg_segment_ptr 1
		.amdhsa_user_sgpr_dispatch_id 0
		.amdhsa_user_sgpr_kernarg_preload_length 0
		.amdhsa_user_sgpr_kernarg_preload_offset 0
		.amdhsa_user_sgpr_private_segment_size 0
		.amdhsa_wavefront_size32 1
		.amdhsa_uses_dynamic_stack 0
		.amdhsa_enable_private_segment 0
		.amdhsa_system_sgpr_workgroup_id_x 1
		.amdhsa_system_sgpr_workgroup_id_y 0
		.amdhsa_system_sgpr_workgroup_id_z 1
		.amdhsa_system_sgpr_workgroup_info 0
		.amdhsa_system_vgpr_workitem_id 0
		.amdhsa_next_free_vgpr 10
		.amdhsa_next_free_sgpr 25
		.amdhsa_named_barrier_count 0
		.amdhsa_reserve_vcc 1
		.amdhsa_float_round_mode_32 0
		.amdhsa_float_round_mode_16_64 0
		.amdhsa_float_denorm_mode_32 3
		.amdhsa_float_denorm_mode_16_64 3
		.amdhsa_fp16_overflow 0
		.amdhsa_memory_ordered 1
		.amdhsa_forward_progress 1
		.amdhsa_inst_pref_size 3
		.amdhsa_round_robin_scheduling 0
		.amdhsa_exception_fp_ieee_invalid_op 0
		.amdhsa_exception_fp_denorm_src 0
		.amdhsa_exception_fp_ieee_div_zero 0
		.amdhsa_exception_fp_ieee_overflow 0
		.amdhsa_exception_fp_ieee_underflow 0
		.amdhsa_exception_fp_ieee_inexact 0
		.amdhsa_exception_int_div_zero 0
	.end_amdhsa_kernel
	.section	.text._ZL19rocblas_copy_kernelIlLi256EP19rocblas_complex_numIdES2_EviT1_lT_lT2_lS4_li,"axG",@progbits,_ZL19rocblas_copy_kernelIlLi256EP19rocblas_complex_numIdES2_EviT1_lT_lT2_lS4_li,comdat
.Lfunc_end21:
	.size	_ZL19rocblas_copy_kernelIlLi256EP19rocblas_complex_numIdES2_EviT1_lT_lT2_lS4_li, .Lfunc_end21-_ZL19rocblas_copy_kernelIlLi256EP19rocblas_complex_numIdES2_EviT1_lT_lT2_lS4_li
                                        ; -- End function
	.set _ZL19rocblas_copy_kernelIlLi256EP19rocblas_complex_numIdES2_EviT1_lT_lT2_lS4_li.num_vgpr, 10
	.set _ZL19rocblas_copy_kernelIlLi256EP19rocblas_complex_numIdES2_EviT1_lT_lT2_lS4_li.num_agpr, 0
	.set _ZL19rocblas_copy_kernelIlLi256EP19rocblas_complex_numIdES2_EviT1_lT_lT2_lS4_li.numbered_sgpr, 25
	.set _ZL19rocblas_copy_kernelIlLi256EP19rocblas_complex_numIdES2_EviT1_lT_lT2_lS4_li.num_named_barrier, 0
	.set _ZL19rocblas_copy_kernelIlLi256EP19rocblas_complex_numIdES2_EviT1_lT_lT2_lS4_li.private_seg_size, 0
	.set _ZL19rocblas_copy_kernelIlLi256EP19rocblas_complex_numIdES2_EviT1_lT_lT2_lS4_li.uses_vcc, 1
	.set _ZL19rocblas_copy_kernelIlLi256EP19rocblas_complex_numIdES2_EviT1_lT_lT2_lS4_li.uses_flat_scratch, 0
	.set _ZL19rocblas_copy_kernelIlLi256EP19rocblas_complex_numIdES2_EviT1_lT_lT2_lS4_li.has_dyn_sized_stack, 0
	.set _ZL19rocblas_copy_kernelIlLi256EP19rocblas_complex_numIdES2_EviT1_lT_lT2_lS4_li.has_recursion, 0
	.set _ZL19rocblas_copy_kernelIlLi256EP19rocblas_complex_numIdES2_EviT1_lT_lT2_lS4_li.has_indirect_call, 0
	.section	.AMDGPU.csdata,"",@progbits
; Kernel info:
; codeLenInByte = 304
; TotalNumSgprs: 27
; NumVgprs: 10
; ScratchSize: 0
; MemoryBound: 0
; FloatMode: 240
; IeeeMode: 1
; LDSByteSize: 0 bytes/workgroup (compile time only)
; SGPRBlocks: 0
; VGPRBlocks: 0
; NumSGPRsForWavesPerEU: 27
; NumVGPRsForWavesPerEU: 10
; NamedBarCnt: 0
; Occupancy: 16
; WaveLimiterHint : 0
; COMPUTE_PGM_RSRC2:SCRATCH_EN: 0
; COMPUTE_PGM_RSRC2:USER_SGPR: 2
; COMPUTE_PGM_RSRC2:TRAP_HANDLER: 0
; COMPUTE_PGM_RSRC2:TGID_X_EN: 1
; COMPUTE_PGM_RSRC2:TGID_Y_EN: 0
; COMPUTE_PGM_RSRC2:TGID_Z_EN: 1
; COMPUTE_PGM_RSRC2:TIDIG_COMP_CNT: 0
	.section	.text._ZL19rocblas_copy_kernelIlLi256EPfPKS0_EviT1_lT_lT2_lS4_li,"axG",@progbits,_ZL19rocblas_copy_kernelIlLi256EPfPKS0_EviT1_lT_lT2_lS4_li,comdat
	.globl	_ZL19rocblas_copy_kernelIlLi256EPfPKS0_EviT1_lT_lT2_lS4_li ; -- Begin function _ZL19rocblas_copy_kernelIlLi256EPfPKS0_EviT1_lT_lT2_lS4_li
	.p2align	8
	.type	_ZL19rocblas_copy_kernelIlLi256EPfPKS0_EviT1_lT_lT2_lS4_li,@function
_ZL19rocblas_copy_kernelIlLi256EPfPKS0_EviT1_lT_lT2_lS4_li: ; @_ZL19rocblas_copy_kernelIlLi256EPfPKS0_EviT1_lT_lT2_lS4_li
; %bb.0:
	s_load_b32 s16, s[0:1], 0x48
	s_bfe_u32 s2, ttmp6, 0x40014
	s_lshr_b32 s3, ttmp7, 16
	s_add_co_i32 s2, s2, 1
	s_bfe_u32 s4, ttmp6, 0x40008
	s_mul_i32 s2, s3, s2
	s_getreg_b32 s12, hwreg(HW_REG_IB_STS2, 6, 4)
	s_add_co_i32 s4, s4, s2
	s_cmp_eq_u32 s12, 0
	s_cselect_b32 s2, s3, s4
	s_mov_b32 s3, 0
	s_wait_kmcnt 0x0
	s_cmp_ge_u32 s2, s16
	s_cbranch_scc1 .LBB22_5
; %bb.1:
	s_clause 0x1
	s_load_b32 s18, s[0:1], 0x0
	s_load_b256 s[4:11], s[0:1], 0x8
	s_bfe_u32 s13, ttmp6, 0x4000c
	s_load_b64 s[14:15], s[0:1], 0x38
	s_add_co_i32 s13, s13, 1
	s_and_b32 s17, ttmp6, 15
	s_mul_i32 s13, ttmp9, s13
	v_mov_b32_e32 v3, 0
	s_add_co_i32 s17, s17, s13
	s_wait_kmcnt 0x0
	s_ashr_i32 s19, s18, 31
	s_lshl_b64 s[6:7], s[6:7], 2
	s_cmp_eq_u32 s12, 0
	s_cselect_b32 s12, ttmp9, s17
	s_delay_alu instid0(SALU_CYCLE_1) | instskip(NEXT) | instid1(VALU_DEP_1)
	v_lshl_or_b32 v2, s12, 8, v0
	v_mul_u64_e32 v[4:5], s[8:9], v[2:3]
	v_mul_u64_e32 v[0:1], s[14:15], v[2:3]
	s_load_b128 s[12:15], s[0:1], 0x28
	s_wait_xcnt 0x0
	s_add_nc_u64 s[0:1], s[4:5], s[6:7]
	v_cmp_gt_i64_e32 vcc_lo, s[18:19], v[2:3]
	s_delay_alu instid0(VALU_DEP_3)
	v_lshl_add_u64 v[2:3], v[4:5], 2, s[0:1]
	s_wait_kmcnt 0x0
	s_lshl_b64 s[0:1], s[14:15], 2
	s_branch .LBB22_3
.LBB22_2:                               ;   in Loop: Header=BB22_3 Depth=1
	s_wait_xcnt 0x0
	s_or_b32 exec_lo, exec_lo, s4
	s_add_co_i32 s2, s2, 0x10000
	s_delay_alu instid0(SALU_CYCLE_1)
	s_cmp_lt_u32 s2, s16
	s_cbranch_scc0 .LBB22_5
.LBB22_3:                               ; =>This Inner Loop Header: Depth=1
	s_and_saveexec_b32 s4, vcc_lo
	s_cbranch_execz .LBB22_2
; %bb.4:                                ;   in Loop: Header=BB22_3 Depth=1
	s_mul_u64 s[6:7], s[10:11], s[2:3]
	s_delay_alu instid0(SALU_CYCLE_1)
	v_lshl_add_u64 v[4:5], s[6:7], 2, v[2:3]
	s_load_b64 s[6:7], s[12:13], s2 offset:0x0 scale_offset
	global_load_b32 v6, v[4:5], off
	s_wait_kmcnt 0x0
	s_add_nc_u64 s[6:7], s[6:7], s[0:1]
	s_wait_xcnt 0x0
	v_lshl_add_u64 v[4:5], v[0:1], 2, s[6:7]
	s_wait_loadcnt 0x0
	flat_store_b32 v[4:5], v6
	s_branch .LBB22_2
.LBB22_5:
	s_endpgm
	.section	.rodata,"a",@progbits
	.p2align	6, 0x0
	.amdhsa_kernel _ZL19rocblas_copy_kernelIlLi256EPfPKS0_EviT1_lT_lT2_lS4_li
		.amdhsa_group_segment_fixed_size 0
		.amdhsa_private_segment_fixed_size 0
		.amdhsa_kernarg_size 76
		.amdhsa_user_sgpr_count 2
		.amdhsa_user_sgpr_dispatch_ptr 0
		.amdhsa_user_sgpr_queue_ptr 0
		.amdhsa_user_sgpr_kernarg_segment_ptr 1
		.amdhsa_user_sgpr_dispatch_id 0
		.amdhsa_user_sgpr_kernarg_preload_length 0
		.amdhsa_user_sgpr_kernarg_preload_offset 0
		.amdhsa_user_sgpr_private_segment_size 0
		.amdhsa_wavefront_size32 1
		.amdhsa_uses_dynamic_stack 0
		.amdhsa_enable_private_segment 0
		.amdhsa_system_sgpr_workgroup_id_x 1
		.amdhsa_system_sgpr_workgroup_id_y 0
		.amdhsa_system_sgpr_workgroup_id_z 1
		.amdhsa_system_sgpr_workgroup_info 0
		.amdhsa_system_vgpr_workitem_id 0
		.amdhsa_next_free_vgpr 7
		.amdhsa_next_free_sgpr 20
		.amdhsa_named_barrier_count 0
		.amdhsa_reserve_vcc 1
		.amdhsa_float_round_mode_32 0
		.amdhsa_float_round_mode_16_64 0
		.amdhsa_float_denorm_mode_32 3
		.amdhsa_float_denorm_mode_16_64 3
		.amdhsa_fp16_overflow 0
		.amdhsa_memory_ordered 1
		.amdhsa_forward_progress 1
		.amdhsa_inst_pref_size 3
		.amdhsa_round_robin_scheduling 0
		.amdhsa_exception_fp_ieee_invalid_op 0
		.amdhsa_exception_fp_denorm_src 0
		.amdhsa_exception_fp_ieee_div_zero 0
		.amdhsa_exception_fp_ieee_overflow 0
		.amdhsa_exception_fp_ieee_underflow 0
		.amdhsa_exception_fp_ieee_inexact 0
		.amdhsa_exception_int_div_zero 0
	.end_amdhsa_kernel
	.section	.text._ZL19rocblas_copy_kernelIlLi256EPfPKS0_EviT1_lT_lT2_lS4_li,"axG",@progbits,_ZL19rocblas_copy_kernelIlLi256EPfPKS0_EviT1_lT_lT2_lS4_li,comdat
.Lfunc_end22:
	.size	_ZL19rocblas_copy_kernelIlLi256EPfPKS0_EviT1_lT_lT2_lS4_li, .Lfunc_end22-_ZL19rocblas_copy_kernelIlLi256EPfPKS0_EviT1_lT_lT2_lS4_li
                                        ; -- End function
	.set _ZL19rocblas_copy_kernelIlLi256EPfPKS0_EviT1_lT_lT2_lS4_li.num_vgpr, 7
	.set _ZL19rocblas_copy_kernelIlLi256EPfPKS0_EviT1_lT_lT2_lS4_li.num_agpr, 0
	.set _ZL19rocblas_copy_kernelIlLi256EPfPKS0_EviT1_lT_lT2_lS4_li.numbered_sgpr, 20
	.set _ZL19rocblas_copy_kernelIlLi256EPfPKS0_EviT1_lT_lT2_lS4_li.num_named_barrier, 0
	.set _ZL19rocblas_copy_kernelIlLi256EPfPKS0_EviT1_lT_lT2_lS4_li.private_seg_size, 0
	.set _ZL19rocblas_copy_kernelIlLi256EPfPKS0_EviT1_lT_lT2_lS4_li.uses_vcc, 1
	.set _ZL19rocblas_copy_kernelIlLi256EPfPKS0_EviT1_lT_lT2_lS4_li.uses_flat_scratch, 0
	.set _ZL19rocblas_copy_kernelIlLi256EPfPKS0_EviT1_lT_lT2_lS4_li.has_dyn_sized_stack, 0
	.set _ZL19rocblas_copy_kernelIlLi256EPfPKS0_EviT1_lT_lT2_lS4_li.has_recursion, 0
	.set _ZL19rocblas_copy_kernelIlLi256EPfPKS0_EviT1_lT_lT2_lS4_li.has_indirect_call, 0
	.section	.AMDGPU.csdata,"",@progbits
; Kernel info:
; codeLenInByte = 324
; TotalNumSgprs: 22
; NumVgprs: 7
; ScratchSize: 0
; MemoryBound: 0
; FloatMode: 240
; IeeeMode: 1
; LDSByteSize: 0 bytes/workgroup (compile time only)
; SGPRBlocks: 0
; VGPRBlocks: 0
; NumSGPRsForWavesPerEU: 22
; NumVGPRsForWavesPerEU: 7
; NamedBarCnt: 0
; Occupancy: 16
; WaveLimiterHint : 1
; COMPUTE_PGM_RSRC2:SCRATCH_EN: 0
; COMPUTE_PGM_RSRC2:USER_SGPR: 2
; COMPUTE_PGM_RSRC2:TRAP_HANDLER: 0
; COMPUTE_PGM_RSRC2:TGID_X_EN: 1
; COMPUTE_PGM_RSRC2:TGID_Y_EN: 0
; COMPUTE_PGM_RSRC2:TGID_Z_EN: 1
; COMPUTE_PGM_RSRC2:TIDIG_COMP_CNT: 0
	.section	.text._ZL19rocblas_copy_kernelIlLi256EPdPKS0_EviT1_lT_lT2_lS4_li,"axG",@progbits,_ZL19rocblas_copy_kernelIlLi256EPdPKS0_EviT1_lT_lT2_lS4_li,comdat
	.globl	_ZL19rocblas_copy_kernelIlLi256EPdPKS0_EviT1_lT_lT2_lS4_li ; -- Begin function _ZL19rocblas_copy_kernelIlLi256EPdPKS0_EviT1_lT_lT2_lS4_li
	.p2align	8
	.type	_ZL19rocblas_copy_kernelIlLi256EPdPKS0_EviT1_lT_lT2_lS4_li,@function
_ZL19rocblas_copy_kernelIlLi256EPdPKS0_EviT1_lT_lT2_lS4_li: ; @_ZL19rocblas_copy_kernelIlLi256EPdPKS0_EviT1_lT_lT2_lS4_li
; %bb.0:
	s_load_b32 s16, s[0:1], 0x48
	s_bfe_u32 s2, ttmp6, 0x40014
	s_lshr_b32 s3, ttmp7, 16
	s_add_co_i32 s2, s2, 1
	s_bfe_u32 s4, ttmp6, 0x40008
	s_mul_i32 s2, s3, s2
	s_getreg_b32 s12, hwreg(HW_REG_IB_STS2, 6, 4)
	s_add_co_i32 s4, s4, s2
	s_cmp_eq_u32 s12, 0
	s_cselect_b32 s2, s3, s4
	s_mov_b32 s3, 0
	s_wait_kmcnt 0x0
	s_cmp_ge_u32 s2, s16
	s_cbranch_scc1 .LBB23_5
; %bb.1:
	s_clause 0x1
	s_load_b32 s18, s[0:1], 0x0
	s_load_b256 s[4:11], s[0:1], 0x8
	s_bfe_u32 s13, ttmp6, 0x4000c
	s_load_b64 s[14:15], s[0:1], 0x38
	s_add_co_i32 s13, s13, 1
	s_and_b32 s17, ttmp6, 15
	s_mul_i32 s13, ttmp9, s13
	v_mov_b32_e32 v3, 0
	s_add_co_i32 s17, s17, s13
	s_wait_kmcnt 0x0
	s_ashr_i32 s19, s18, 31
	s_lshl_b64 s[6:7], s[6:7], 3
	s_cmp_eq_u32 s12, 0
	s_cselect_b32 s12, ttmp9, s17
	s_delay_alu instid0(SALU_CYCLE_1) | instskip(NEXT) | instid1(VALU_DEP_1)
	v_lshl_or_b32 v2, s12, 8, v0
	v_mul_u64_e32 v[4:5], s[8:9], v[2:3]
	v_mul_u64_e32 v[0:1], s[14:15], v[2:3]
	s_load_b128 s[12:15], s[0:1], 0x28
	s_wait_xcnt 0x0
	s_add_nc_u64 s[0:1], s[4:5], s[6:7]
	v_cmp_gt_i64_e32 vcc_lo, s[18:19], v[2:3]
	s_delay_alu instid0(VALU_DEP_3)
	v_lshl_add_u64 v[2:3], v[4:5], 3, s[0:1]
	s_wait_kmcnt 0x0
	s_lshl_b64 s[0:1], s[14:15], 3
	s_branch .LBB23_3
.LBB23_2:                               ;   in Loop: Header=BB23_3 Depth=1
	s_wait_xcnt 0x0
	s_or_b32 exec_lo, exec_lo, s4
	s_add_co_i32 s2, s2, 0x10000
	s_delay_alu instid0(SALU_CYCLE_1)
	s_cmp_lt_u32 s2, s16
	s_cbranch_scc0 .LBB23_5
.LBB23_3:                               ; =>This Inner Loop Header: Depth=1
	s_and_saveexec_b32 s4, vcc_lo
	s_cbranch_execz .LBB23_2
; %bb.4:                                ;   in Loop: Header=BB23_3 Depth=1
	s_mul_u64 s[6:7], s[10:11], s[2:3]
	s_delay_alu instid0(SALU_CYCLE_1) | instskip(SKIP_4) | instid1(SALU_CYCLE_1)
	v_lshl_add_u64 v[4:5], s[6:7], 3, v[2:3]
	s_load_b64 s[6:7], s[12:13], s2 offset:0x0 scale_offset
	global_load_b64 v[4:5], v[4:5], off
	s_wait_kmcnt 0x0
	s_add_nc_u64 s[6:7], s[6:7], s[0:1]
	v_lshl_add_u64 v[6:7], v[0:1], 3, s[6:7]
	s_wait_loadcnt 0x0
	flat_store_b64 v[6:7], v[4:5]
	s_branch .LBB23_2
.LBB23_5:
	s_endpgm
	.section	.rodata,"a",@progbits
	.p2align	6, 0x0
	.amdhsa_kernel _ZL19rocblas_copy_kernelIlLi256EPdPKS0_EviT1_lT_lT2_lS4_li
		.amdhsa_group_segment_fixed_size 0
		.amdhsa_private_segment_fixed_size 0
		.amdhsa_kernarg_size 76
		.amdhsa_user_sgpr_count 2
		.amdhsa_user_sgpr_dispatch_ptr 0
		.amdhsa_user_sgpr_queue_ptr 0
		.amdhsa_user_sgpr_kernarg_segment_ptr 1
		.amdhsa_user_sgpr_dispatch_id 0
		.amdhsa_user_sgpr_kernarg_preload_length 0
		.amdhsa_user_sgpr_kernarg_preload_offset 0
		.amdhsa_user_sgpr_private_segment_size 0
		.amdhsa_wavefront_size32 1
		.amdhsa_uses_dynamic_stack 0
		.amdhsa_enable_private_segment 0
		.amdhsa_system_sgpr_workgroup_id_x 1
		.amdhsa_system_sgpr_workgroup_id_y 0
		.amdhsa_system_sgpr_workgroup_id_z 1
		.amdhsa_system_sgpr_workgroup_info 0
		.amdhsa_system_vgpr_workitem_id 0
		.amdhsa_next_free_vgpr 8
		.amdhsa_next_free_sgpr 20
		.amdhsa_named_barrier_count 0
		.amdhsa_reserve_vcc 1
		.amdhsa_float_round_mode_32 0
		.amdhsa_float_round_mode_16_64 0
		.amdhsa_float_denorm_mode_32 3
		.amdhsa_float_denorm_mode_16_64 3
		.amdhsa_fp16_overflow 0
		.amdhsa_memory_ordered 1
		.amdhsa_forward_progress 1
		.amdhsa_inst_pref_size 3
		.amdhsa_round_robin_scheduling 0
		.amdhsa_exception_fp_ieee_invalid_op 0
		.amdhsa_exception_fp_denorm_src 0
		.amdhsa_exception_fp_ieee_div_zero 0
		.amdhsa_exception_fp_ieee_overflow 0
		.amdhsa_exception_fp_ieee_underflow 0
		.amdhsa_exception_fp_ieee_inexact 0
		.amdhsa_exception_int_div_zero 0
	.end_amdhsa_kernel
	.section	.text._ZL19rocblas_copy_kernelIlLi256EPdPKS0_EviT1_lT_lT2_lS4_li,"axG",@progbits,_ZL19rocblas_copy_kernelIlLi256EPdPKS0_EviT1_lT_lT2_lS4_li,comdat
.Lfunc_end23:
	.size	_ZL19rocblas_copy_kernelIlLi256EPdPKS0_EviT1_lT_lT2_lS4_li, .Lfunc_end23-_ZL19rocblas_copy_kernelIlLi256EPdPKS0_EviT1_lT_lT2_lS4_li
                                        ; -- End function
	.set _ZL19rocblas_copy_kernelIlLi256EPdPKS0_EviT1_lT_lT2_lS4_li.num_vgpr, 8
	.set _ZL19rocblas_copy_kernelIlLi256EPdPKS0_EviT1_lT_lT2_lS4_li.num_agpr, 0
	.set _ZL19rocblas_copy_kernelIlLi256EPdPKS0_EviT1_lT_lT2_lS4_li.numbered_sgpr, 20
	.set _ZL19rocblas_copy_kernelIlLi256EPdPKS0_EviT1_lT_lT2_lS4_li.num_named_barrier, 0
	.set _ZL19rocblas_copy_kernelIlLi256EPdPKS0_EviT1_lT_lT2_lS4_li.private_seg_size, 0
	.set _ZL19rocblas_copy_kernelIlLi256EPdPKS0_EviT1_lT_lT2_lS4_li.uses_vcc, 1
	.set _ZL19rocblas_copy_kernelIlLi256EPdPKS0_EviT1_lT_lT2_lS4_li.uses_flat_scratch, 0
	.set _ZL19rocblas_copy_kernelIlLi256EPdPKS0_EviT1_lT_lT2_lS4_li.has_dyn_sized_stack, 0
	.set _ZL19rocblas_copy_kernelIlLi256EPdPKS0_EviT1_lT_lT2_lS4_li.has_recursion, 0
	.set _ZL19rocblas_copy_kernelIlLi256EPdPKS0_EviT1_lT_lT2_lS4_li.has_indirect_call, 0
	.section	.AMDGPU.csdata,"",@progbits
; Kernel info:
; codeLenInByte = 320
; TotalNumSgprs: 22
; NumVgprs: 8
; ScratchSize: 0
; MemoryBound: 0
; FloatMode: 240
; IeeeMode: 1
; LDSByteSize: 0 bytes/workgroup (compile time only)
; SGPRBlocks: 0
; VGPRBlocks: 0
; NumSGPRsForWavesPerEU: 22
; NumVGPRsForWavesPerEU: 8
; NamedBarCnt: 0
; Occupancy: 16
; WaveLimiterHint : 1
; COMPUTE_PGM_RSRC2:SCRATCH_EN: 0
; COMPUTE_PGM_RSRC2:USER_SGPR: 2
; COMPUTE_PGM_RSRC2:TRAP_HANDLER: 0
; COMPUTE_PGM_RSRC2:TGID_X_EN: 1
; COMPUTE_PGM_RSRC2:TGID_Y_EN: 0
; COMPUTE_PGM_RSRC2:TGID_Z_EN: 1
; COMPUTE_PGM_RSRC2:TIDIG_COMP_CNT: 0
	.section	.text._ZL19rocblas_copy_kernelIlLi256EP19rocblas_complex_numIfEPKS2_EviT1_lT_lT2_lS6_li,"axG",@progbits,_ZL19rocblas_copy_kernelIlLi256EP19rocblas_complex_numIfEPKS2_EviT1_lT_lT2_lS6_li,comdat
	.globl	_ZL19rocblas_copy_kernelIlLi256EP19rocblas_complex_numIfEPKS2_EviT1_lT_lT2_lS6_li ; -- Begin function _ZL19rocblas_copy_kernelIlLi256EP19rocblas_complex_numIfEPKS2_EviT1_lT_lT2_lS6_li
	.p2align	8
	.type	_ZL19rocblas_copy_kernelIlLi256EP19rocblas_complex_numIfEPKS2_EviT1_lT_lT2_lS6_li,@function
_ZL19rocblas_copy_kernelIlLi256EP19rocblas_complex_numIfEPKS2_EviT1_lT_lT2_lS6_li: ; @_ZL19rocblas_copy_kernelIlLi256EP19rocblas_complex_numIfEPKS2_EviT1_lT_lT2_lS6_li
; %bb.0:
	s_load_b32 s16, s[0:1], 0x48
	s_bfe_u32 s2, ttmp6, 0x40014
	s_lshr_b32 s3, ttmp7, 16
	s_add_co_i32 s2, s2, 1
	s_bfe_u32 s4, ttmp6, 0x40008
	s_mul_i32 s2, s3, s2
	s_getreg_b32 s12, hwreg(HW_REG_IB_STS2, 6, 4)
	s_add_co_i32 s4, s4, s2
	s_cmp_eq_u32 s12, 0
	s_cselect_b32 s2, s3, s4
	s_mov_b32 s3, 0
	s_wait_kmcnt 0x0
	s_cmp_ge_u32 s2, s16
	s_cbranch_scc1 .LBB24_5
; %bb.1:
	s_clause 0x1
	s_load_b32 s18, s[0:1], 0x0
	s_load_b256 s[4:11], s[0:1], 0x8
	s_bfe_u32 s13, ttmp6, 0x4000c
	s_load_b64 s[14:15], s[0:1], 0x38
	s_add_co_i32 s13, s13, 1
	s_and_b32 s17, ttmp6, 15
	s_mul_i32 s13, ttmp9, s13
	v_mov_b32_e32 v3, 0
	s_add_co_i32 s17, s17, s13
	s_wait_kmcnt 0x0
	s_ashr_i32 s19, s18, 31
	s_lshl_b64 s[6:7], s[6:7], 3
	s_cmp_eq_u32 s12, 0
	s_cselect_b32 s12, ttmp9, s17
	s_delay_alu instid0(SALU_CYCLE_1) | instskip(NEXT) | instid1(VALU_DEP_1)
	v_lshl_or_b32 v2, s12, 8, v0
	v_mul_u64_e32 v[4:5], s[8:9], v[2:3]
	v_mul_u64_e32 v[0:1], s[14:15], v[2:3]
	s_load_b128 s[12:15], s[0:1], 0x28
	s_wait_xcnt 0x0
	s_add_nc_u64 s[0:1], s[4:5], s[6:7]
	v_cmp_gt_i64_e32 vcc_lo, s[18:19], v[2:3]
	s_delay_alu instid0(VALU_DEP_3)
	v_lshl_add_u64 v[2:3], v[4:5], 3, s[0:1]
	s_wait_kmcnt 0x0
	s_lshl_b64 s[0:1], s[14:15], 3
	s_branch .LBB24_3
.LBB24_2:                               ;   in Loop: Header=BB24_3 Depth=1
	s_wait_xcnt 0x0
	s_or_b32 exec_lo, exec_lo, s4
	s_add_co_i32 s2, s2, 0x10000
	s_delay_alu instid0(SALU_CYCLE_1)
	s_cmp_lt_u32 s2, s16
	s_cbranch_scc0 .LBB24_5
.LBB24_3:                               ; =>This Inner Loop Header: Depth=1
	s_and_saveexec_b32 s4, vcc_lo
	s_cbranch_execz .LBB24_2
; %bb.4:                                ;   in Loop: Header=BB24_3 Depth=1
	v_mov_b32_e32 v4, s2
	s_mul_u64 s[6:7], s[10:11], s[2:3]
	s_delay_alu instid0(SALU_CYCLE_1)
	v_lshl_add_u64 v[6:7], s[6:7], 3, v[2:3]
	global_load_b64 v[4:5], v4, s[12:13] scale_offset
	global_load_b64 v[6:7], v[6:7], off
	s_wait_loadcnt 0x1
	s_wait_xcnt 0x1
	v_add_nc_u64_e32 v[4:5], s[0:1], v[4:5]
	s_delay_alu instid0(VALU_DEP_1)
	v_lshl_add_u64 v[4:5], v[0:1], 3, v[4:5]
	s_wait_loadcnt 0x0
	flat_store_b64 v[4:5], v[6:7]
	s_branch .LBB24_2
.LBB24_5:
	s_endpgm
	.section	.rodata,"a",@progbits
	.p2align	6, 0x0
	.amdhsa_kernel _ZL19rocblas_copy_kernelIlLi256EP19rocblas_complex_numIfEPKS2_EviT1_lT_lT2_lS6_li
		.amdhsa_group_segment_fixed_size 0
		.amdhsa_private_segment_fixed_size 0
		.amdhsa_kernarg_size 76
		.amdhsa_user_sgpr_count 2
		.amdhsa_user_sgpr_dispatch_ptr 0
		.amdhsa_user_sgpr_queue_ptr 0
		.amdhsa_user_sgpr_kernarg_segment_ptr 1
		.amdhsa_user_sgpr_dispatch_id 0
		.amdhsa_user_sgpr_kernarg_preload_length 0
		.amdhsa_user_sgpr_kernarg_preload_offset 0
		.amdhsa_user_sgpr_private_segment_size 0
		.amdhsa_wavefront_size32 1
		.amdhsa_uses_dynamic_stack 0
		.amdhsa_enable_private_segment 0
		.amdhsa_system_sgpr_workgroup_id_x 1
		.amdhsa_system_sgpr_workgroup_id_y 0
		.amdhsa_system_sgpr_workgroup_id_z 1
		.amdhsa_system_sgpr_workgroup_info 0
		.amdhsa_system_vgpr_workitem_id 0
		.amdhsa_next_free_vgpr 8
		.amdhsa_next_free_sgpr 20
		.amdhsa_named_barrier_count 0
		.amdhsa_reserve_vcc 1
		.amdhsa_float_round_mode_32 0
		.amdhsa_float_round_mode_16_64 0
		.amdhsa_float_denorm_mode_32 3
		.amdhsa_float_denorm_mode_16_64 3
		.amdhsa_fp16_overflow 0
		.amdhsa_memory_ordered 1
		.amdhsa_forward_progress 1
		.amdhsa_inst_pref_size 3
		.amdhsa_round_robin_scheduling 0
		.amdhsa_exception_fp_ieee_invalid_op 0
		.amdhsa_exception_fp_denorm_src 0
		.amdhsa_exception_fp_ieee_div_zero 0
		.amdhsa_exception_fp_ieee_overflow 0
		.amdhsa_exception_fp_ieee_underflow 0
		.amdhsa_exception_fp_ieee_inexact 0
		.amdhsa_exception_int_div_zero 0
	.end_amdhsa_kernel
	.section	.text._ZL19rocblas_copy_kernelIlLi256EP19rocblas_complex_numIfEPKS2_EviT1_lT_lT2_lS6_li,"axG",@progbits,_ZL19rocblas_copy_kernelIlLi256EP19rocblas_complex_numIfEPKS2_EviT1_lT_lT2_lS6_li,comdat
.Lfunc_end24:
	.size	_ZL19rocblas_copy_kernelIlLi256EP19rocblas_complex_numIfEPKS2_EviT1_lT_lT2_lS6_li, .Lfunc_end24-_ZL19rocblas_copy_kernelIlLi256EP19rocblas_complex_numIfEPKS2_EviT1_lT_lT2_lS6_li
                                        ; -- End function
	.set _ZL19rocblas_copy_kernelIlLi256EP19rocblas_complex_numIfEPKS2_EviT1_lT_lT2_lS6_li.num_vgpr, 8
	.set _ZL19rocblas_copy_kernelIlLi256EP19rocblas_complex_numIfEPKS2_EviT1_lT_lT2_lS6_li.num_agpr, 0
	.set _ZL19rocblas_copy_kernelIlLi256EP19rocblas_complex_numIfEPKS2_EviT1_lT_lT2_lS6_li.numbered_sgpr, 20
	.set _ZL19rocblas_copy_kernelIlLi256EP19rocblas_complex_numIfEPKS2_EviT1_lT_lT2_lS6_li.num_named_barrier, 0
	.set _ZL19rocblas_copy_kernelIlLi256EP19rocblas_complex_numIfEPKS2_EviT1_lT_lT2_lS6_li.private_seg_size, 0
	.set _ZL19rocblas_copy_kernelIlLi256EP19rocblas_complex_numIfEPKS2_EviT1_lT_lT2_lS6_li.uses_vcc, 1
	.set _ZL19rocblas_copy_kernelIlLi256EP19rocblas_complex_numIfEPKS2_EviT1_lT_lT2_lS6_li.uses_flat_scratch, 0
	.set _ZL19rocblas_copy_kernelIlLi256EP19rocblas_complex_numIfEPKS2_EviT1_lT_lT2_lS6_li.has_dyn_sized_stack, 0
	.set _ZL19rocblas_copy_kernelIlLi256EP19rocblas_complex_numIfEPKS2_EviT1_lT_lT2_lS6_li.has_recursion, 0
	.set _ZL19rocblas_copy_kernelIlLi256EP19rocblas_complex_numIfEPKS2_EviT1_lT_lT2_lS6_li.has_indirect_call, 0
	.section	.AMDGPU.csdata,"",@progbits
; Kernel info:
; codeLenInByte = 336
; TotalNumSgprs: 22
; NumVgprs: 8
; ScratchSize: 0
; MemoryBound: 0
; FloatMode: 240
; IeeeMode: 1
; LDSByteSize: 0 bytes/workgroup (compile time only)
; SGPRBlocks: 0
; VGPRBlocks: 0
; NumSGPRsForWavesPerEU: 22
; NumVGPRsForWavesPerEU: 8
; NamedBarCnt: 0
; Occupancy: 16
; WaveLimiterHint : 1
; COMPUTE_PGM_RSRC2:SCRATCH_EN: 0
; COMPUTE_PGM_RSRC2:USER_SGPR: 2
; COMPUTE_PGM_RSRC2:TRAP_HANDLER: 0
; COMPUTE_PGM_RSRC2:TGID_X_EN: 1
; COMPUTE_PGM_RSRC2:TGID_Y_EN: 0
; COMPUTE_PGM_RSRC2:TGID_Z_EN: 1
; COMPUTE_PGM_RSRC2:TIDIG_COMP_CNT: 0
	.section	.text._ZL19rocblas_copy_kernelIlLi256EP19rocblas_complex_numIdEPKS2_EviT1_lT_lT2_lS6_li,"axG",@progbits,_ZL19rocblas_copy_kernelIlLi256EP19rocblas_complex_numIdEPKS2_EviT1_lT_lT2_lS6_li,comdat
	.globl	_ZL19rocblas_copy_kernelIlLi256EP19rocblas_complex_numIdEPKS2_EviT1_lT_lT2_lS6_li ; -- Begin function _ZL19rocblas_copy_kernelIlLi256EP19rocblas_complex_numIdEPKS2_EviT1_lT_lT2_lS6_li
	.p2align	8
	.type	_ZL19rocblas_copy_kernelIlLi256EP19rocblas_complex_numIdEPKS2_EviT1_lT_lT2_lS6_li,@function
_ZL19rocblas_copy_kernelIlLi256EP19rocblas_complex_numIdEPKS2_EviT1_lT_lT2_lS6_li: ; @_ZL19rocblas_copy_kernelIlLi256EP19rocblas_complex_numIdEPKS2_EviT1_lT_lT2_lS6_li
; %bb.0:
	s_load_b32 s16, s[0:1], 0x48
	s_bfe_u32 s2, ttmp6, 0x40014
	s_lshr_b32 s3, ttmp7, 16
	s_add_co_i32 s2, s2, 1
	s_bfe_u32 s4, ttmp6, 0x40008
	s_mul_i32 s2, s3, s2
	s_getreg_b32 s12, hwreg(HW_REG_IB_STS2, 6, 4)
	s_add_co_i32 s4, s4, s2
	s_cmp_eq_u32 s12, 0
	s_cselect_b32 s2, s3, s4
	s_mov_b32 s3, 0
	s_wait_kmcnt 0x0
	s_cmp_ge_u32 s2, s16
	s_cbranch_scc1 .LBB25_5
; %bb.1:
	s_clause 0x1
	s_load_b32 s18, s[0:1], 0x0
	s_load_b256 s[4:11], s[0:1], 0x8
	s_bfe_u32 s13, ttmp6, 0x4000c
	s_load_b64 s[14:15], s[0:1], 0x38
	s_add_co_i32 s13, s13, 1
	s_and_b32 s17, ttmp6, 15
	s_mul_i32 s13, ttmp9, s13
	v_mov_b32_e32 v3, 0
	s_add_co_i32 s17, s17, s13
	s_wait_kmcnt 0x0
	s_ashr_i32 s19, s18, 31
	s_lshl_b64 s[6:7], s[6:7], 4
	s_cmp_eq_u32 s12, 0
	s_cselect_b32 s12, ttmp9, s17
	s_delay_alu instid0(SALU_CYCLE_1) | instskip(NEXT) | instid1(VALU_DEP_1)
	v_lshl_or_b32 v2, s12, 8, v0
	v_mul_u64_e32 v[4:5], s[8:9], v[2:3]
	v_mul_u64_e32 v[0:1], s[14:15], v[2:3]
	s_load_b128 s[12:15], s[0:1], 0x28
	s_wait_xcnt 0x0
	s_add_nc_u64 s[0:1], s[4:5], s[6:7]
	v_cmp_gt_i64_e32 vcc_lo, s[18:19], v[2:3]
	s_delay_alu instid0(VALU_DEP_3)
	v_lshl_add_u64 v[2:3], v[4:5], 4, s[0:1]
	s_wait_kmcnt 0x0
	s_lshl_b64 s[0:1], s[14:15], 4
	s_branch .LBB25_3
.LBB25_2:                               ;   in Loop: Header=BB25_3 Depth=1
	s_wait_xcnt 0x0
	s_or_b32 exec_lo, exec_lo, s4
	s_add_co_i32 s2, s2, 0x10000
	s_delay_alu instid0(SALU_CYCLE_1)
	s_cmp_lt_u32 s2, s16
	s_cbranch_scc0 .LBB25_5
.LBB25_3:                               ; =>This Inner Loop Header: Depth=1
	s_and_saveexec_b32 s4, vcc_lo
	s_cbranch_execz .LBB25_2
; %bb.4:                                ;   in Loop: Header=BB25_3 Depth=1
	v_mov_b32_e32 v4, s2
	s_mul_u64 s[6:7], s[10:11], s[2:3]
	global_load_b64 v[8:9], v4, s[12:13] scale_offset
	s_wait_xcnt 0x0
	v_lshl_add_u64 v[4:5], s[6:7], 4, v[2:3]
	global_load_b128 v[4:7], v[4:5], off
	s_wait_loadcnt 0x1
	v_add_nc_u64_e32 v[8:9], s[0:1], v[8:9]
	s_delay_alu instid0(VALU_DEP_1)
	v_lshl_add_u64 v[8:9], v[0:1], 4, v[8:9]
	s_wait_loadcnt 0x0
	flat_store_b128 v[8:9], v[4:7]
	s_branch .LBB25_2
.LBB25_5:
	s_endpgm
	.section	.rodata,"a",@progbits
	.p2align	6, 0x0
	.amdhsa_kernel _ZL19rocblas_copy_kernelIlLi256EP19rocblas_complex_numIdEPKS2_EviT1_lT_lT2_lS6_li
		.amdhsa_group_segment_fixed_size 0
		.amdhsa_private_segment_fixed_size 0
		.amdhsa_kernarg_size 76
		.amdhsa_user_sgpr_count 2
		.amdhsa_user_sgpr_dispatch_ptr 0
		.amdhsa_user_sgpr_queue_ptr 0
		.amdhsa_user_sgpr_kernarg_segment_ptr 1
		.amdhsa_user_sgpr_dispatch_id 0
		.amdhsa_user_sgpr_kernarg_preload_length 0
		.amdhsa_user_sgpr_kernarg_preload_offset 0
		.amdhsa_user_sgpr_private_segment_size 0
		.amdhsa_wavefront_size32 1
		.amdhsa_uses_dynamic_stack 0
		.amdhsa_enable_private_segment 0
		.amdhsa_system_sgpr_workgroup_id_x 1
		.amdhsa_system_sgpr_workgroup_id_y 0
		.amdhsa_system_sgpr_workgroup_id_z 1
		.amdhsa_system_sgpr_workgroup_info 0
		.amdhsa_system_vgpr_workitem_id 0
		.amdhsa_next_free_vgpr 10
		.amdhsa_next_free_sgpr 20
		.amdhsa_named_barrier_count 0
		.amdhsa_reserve_vcc 1
		.amdhsa_float_round_mode_32 0
		.amdhsa_float_round_mode_16_64 0
		.amdhsa_float_denorm_mode_32 3
		.amdhsa_float_denorm_mode_16_64 3
		.amdhsa_fp16_overflow 0
		.amdhsa_memory_ordered 1
		.amdhsa_forward_progress 1
		.amdhsa_inst_pref_size 3
		.amdhsa_round_robin_scheduling 0
		.amdhsa_exception_fp_ieee_invalid_op 0
		.amdhsa_exception_fp_denorm_src 0
		.amdhsa_exception_fp_ieee_div_zero 0
		.amdhsa_exception_fp_ieee_overflow 0
		.amdhsa_exception_fp_ieee_underflow 0
		.amdhsa_exception_fp_ieee_inexact 0
		.amdhsa_exception_int_div_zero 0
	.end_amdhsa_kernel
	.section	.text._ZL19rocblas_copy_kernelIlLi256EP19rocblas_complex_numIdEPKS2_EviT1_lT_lT2_lS6_li,"axG",@progbits,_ZL19rocblas_copy_kernelIlLi256EP19rocblas_complex_numIdEPKS2_EviT1_lT_lT2_lS6_li,comdat
.Lfunc_end25:
	.size	_ZL19rocblas_copy_kernelIlLi256EP19rocblas_complex_numIdEPKS2_EviT1_lT_lT2_lS6_li, .Lfunc_end25-_ZL19rocblas_copy_kernelIlLi256EP19rocblas_complex_numIdEPKS2_EviT1_lT_lT2_lS6_li
                                        ; -- End function
	.set _ZL19rocblas_copy_kernelIlLi256EP19rocblas_complex_numIdEPKS2_EviT1_lT_lT2_lS6_li.num_vgpr, 10
	.set _ZL19rocblas_copy_kernelIlLi256EP19rocblas_complex_numIdEPKS2_EviT1_lT_lT2_lS6_li.num_agpr, 0
	.set _ZL19rocblas_copy_kernelIlLi256EP19rocblas_complex_numIdEPKS2_EviT1_lT_lT2_lS6_li.numbered_sgpr, 20
	.set _ZL19rocblas_copy_kernelIlLi256EP19rocblas_complex_numIdEPKS2_EviT1_lT_lT2_lS6_li.num_named_barrier, 0
	.set _ZL19rocblas_copy_kernelIlLi256EP19rocblas_complex_numIdEPKS2_EviT1_lT_lT2_lS6_li.private_seg_size, 0
	.set _ZL19rocblas_copy_kernelIlLi256EP19rocblas_complex_numIdEPKS2_EviT1_lT_lT2_lS6_li.uses_vcc, 1
	.set _ZL19rocblas_copy_kernelIlLi256EP19rocblas_complex_numIdEPKS2_EviT1_lT_lT2_lS6_li.uses_flat_scratch, 0
	.set _ZL19rocblas_copy_kernelIlLi256EP19rocblas_complex_numIdEPKS2_EviT1_lT_lT2_lS6_li.has_dyn_sized_stack, 0
	.set _ZL19rocblas_copy_kernelIlLi256EP19rocblas_complex_numIdEPKS2_EviT1_lT_lT2_lS6_li.has_recursion, 0
	.set _ZL19rocblas_copy_kernelIlLi256EP19rocblas_complex_numIdEPKS2_EviT1_lT_lT2_lS6_li.has_indirect_call, 0
	.section	.AMDGPU.csdata,"",@progbits
; Kernel info:
; codeLenInByte = 332
; TotalNumSgprs: 22
; NumVgprs: 10
; ScratchSize: 0
; MemoryBound: 0
; FloatMode: 240
; IeeeMode: 1
; LDSByteSize: 0 bytes/workgroup (compile time only)
; SGPRBlocks: 0
; VGPRBlocks: 0
; NumSGPRsForWavesPerEU: 22
; NumVGPRsForWavesPerEU: 10
; NamedBarCnt: 0
; Occupancy: 16
; WaveLimiterHint : 1
; COMPUTE_PGM_RSRC2:SCRATCH_EN: 0
; COMPUTE_PGM_RSRC2:USER_SGPR: 2
; COMPUTE_PGM_RSRC2:TRAP_HANDLER: 0
; COMPUTE_PGM_RSRC2:TGID_X_EN: 1
; COMPUTE_PGM_RSRC2:TGID_Y_EN: 0
; COMPUTE_PGM_RSRC2:TGID_Z_EN: 1
; COMPUTE_PGM_RSRC2:TIDIG_COMP_CNT: 0
	.section	.AMDGPU.gpr_maximums,"",@progbits
	.set amdgpu.max_num_vgpr, 0
	.set amdgpu.max_num_agpr, 0
	.set amdgpu.max_num_sgpr, 0
	.section	.AMDGPU.csdata,"",@progbits
	.type	__hip_cuid_74c20427d39fdfc7,@object ; @__hip_cuid_74c20427d39fdfc7
	.section	.bss,"aw",@nobits
	.globl	__hip_cuid_74c20427d39fdfc7
__hip_cuid_74c20427d39fdfc7:
	.byte	0                               ; 0x0
	.size	__hip_cuid_74c20427d39fdfc7, 1

	.ident	"AMD clang version 22.0.0git (https://github.com/RadeonOpenCompute/llvm-project roc-7.2.4 26084 f58b06dce1f9c15707c5f808fd002e18c2accf7e)"
	.section	".note.GNU-stack","",@progbits
	.addrsig
	.addrsig_sym __hip_cuid_74c20427d39fdfc7
	.amdgpu_metadata
---
amdhsa.kernels:
  - .args:
      - .offset:         0
        .size:           4
        .value_kind:     by_value
      - .address_space:  global
        .offset:         8
        .size:           8
        .value_kind:     global_buffer
      - .offset:         16
        .size:           8
        .value_kind:     by_value
      - .offset:         24
        .size:           4
        .value_kind:     by_value
      - .offset:         32
        .size:           8
        .value_kind:     by_value
      - .address_space:  global
        .offset:         40
        .size:           8
        .value_kind:     global_buffer
      - .offset:         48
        .size:           8
        .value_kind:     by_value
      - .offset:         56
        .size:           4
        .value_kind:     by_value
      - .offset:         64
        .size:           8
        .value_kind:     by_value
      - .offset:         72
        .size:           4
        .value_kind:     by_value
    .group_segment_fixed_size: 0
    .kernarg_segment_align: 8
    .kernarg_segment_size: 76
    .language:       OpenCL C
    .language_version:
      - 2
      - 0
    .max_flat_workgroup_size: 256
    .name:           _ZL19rocblas_copy_kernelIiLi256EPKfPfEviT1_lT_lT2_lS4_li
    .private_segment_fixed_size: 0
    .sgpr_count:     24
    .sgpr_spill_count: 0
    .symbol:         _ZL19rocblas_copy_kernelIiLi256EPKfPfEviT1_lT_lT2_lS4_li.kd
    .uniform_work_group_size: 1
    .uses_dynamic_stack: false
    .vgpr_count:     7
    .vgpr_spill_count: 0
    .wavefront_size: 32
  - .args:
      - .offset:         0
        .size:           4
        .value_kind:     by_value
      - .actual_access:  read_only
        .address_space:  global
        .offset:         8
        .size:           8
        .value_kind:     global_buffer
      - .offset:         16
        .size:           8
        .value_kind:     by_value
      - .offset:         24
        .size:           8
        .value_kind:     by_value
      - .actual_access:  write_only
        .address_space:  global
        .offset:         32
        .size:           8
        .value_kind:     global_buffer
      - .offset:         40
        .size:           8
        .value_kind:     by_value
      - .offset:         48
        .size:           8
        .value_kind:     by_value
      - .offset:         56
        .size:           4
        .value_kind:     by_value
    .group_segment_fixed_size: 0
    .kernarg_segment_align: 8
    .kernarg_segment_size: 60
    .language:       OpenCL C
    .language_version:
      - 2
      - 0
    .max_flat_workgroup_size: 256
    .name:           _ZL22rocblas_scopy_2_kernelILi256EPKfPfEviT0_llT1_lli
    .private_segment_fixed_size: 0
    .sgpr_count:     23
    .sgpr_spill_count: 0
    .symbol:         _ZL22rocblas_scopy_2_kernelILi256EPKfPfEviT0_llT1_lli.kd
    .uniform_work_group_size: 1
    .uses_dynamic_stack: false
    .vgpr_count:     8
    .vgpr_spill_count: 0
    .wavefront_size: 32
  - .args:
      - .offset:         0
        .size:           4
        .value_kind:     by_value
      - .address_space:  global
        .offset:         8
        .size:           8
        .value_kind:     global_buffer
      - .offset:         16
        .size:           8
        .value_kind:     by_value
      - .offset:         24
        .size:           4
        .value_kind:     by_value
      - .offset:         32
        .size:           8
        .value_kind:     by_value
      - .address_space:  global
        .offset:         40
        .size:           8
        .value_kind:     global_buffer
      - .offset:         48
        .size:           8
        .value_kind:     by_value
      - .offset:         56
        .size:           4
        .value_kind:     by_value
      - .offset:         64
        .size:           8
        .value_kind:     by_value
      - .offset:         72
        .size:           4
        .value_kind:     by_value
    .group_segment_fixed_size: 0
    .kernarg_segment_align: 8
    .kernarg_segment_size: 76
    .language:       OpenCL C
    .language_version:
      - 2
      - 0
    .max_flat_workgroup_size: 256
    .name:           _ZL19rocblas_copy_kernelIiLi256EPKdPdEviT1_lT_lT2_lS4_li
    .private_segment_fixed_size: 0
    .sgpr_count:     24
    .sgpr_spill_count: 0
    .symbol:         _ZL19rocblas_copy_kernelIiLi256EPKdPdEviT1_lT_lT2_lS4_li.kd
    .uniform_work_group_size: 1
    .uses_dynamic_stack: false
    .vgpr_count:     8
    .vgpr_spill_count: 0
    .wavefront_size: 32
  - .args:
      - .offset:         0
        .size:           4
        .value_kind:     by_value
      - .address_space:  global
        .offset:         8
        .size:           8
        .value_kind:     global_buffer
      - .offset:         16
        .size:           8
        .value_kind:     by_value
      - .offset:         24
        .size:           4
        .value_kind:     by_value
      - .offset:         32
        .size:           8
        .value_kind:     by_value
      - .address_space:  global
        .offset:         40
        .size:           8
        .value_kind:     global_buffer
      - .offset:         48
        .size:           8
        .value_kind:     by_value
      - .offset:         56
        .size:           4
        .value_kind:     by_value
      - .offset:         64
        .size:           8
        .value_kind:     by_value
      - .offset:         72
        .size:           4
        .value_kind:     by_value
    .group_segment_fixed_size: 0
    .kernarg_segment_align: 8
    .kernarg_segment_size: 76
    .language:       OpenCL C
    .language_version:
      - 2
      - 0
    .max_flat_workgroup_size: 256
    .name:           _ZL19rocblas_copy_kernelIiLi256EPKDF16_PDF16_EviT1_lT_lT2_lS4_li
    .private_segment_fixed_size: 0
    .sgpr_count:     24
    .sgpr_spill_count: 0
    .symbol:         _ZL19rocblas_copy_kernelIiLi256EPKDF16_PDF16_EviT1_lT_lT2_lS4_li.kd
    .uniform_work_group_size: 1
    .uses_dynamic_stack: false
    .vgpr_count:     7
    .vgpr_spill_count: 0
    .wavefront_size: 32
  - .args:
      - .offset:         0
        .size:           4
        .value_kind:     by_value
      - .address_space:  global
        .offset:         8
        .size:           8
        .value_kind:     global_buffer
      - .offset:         16
        .size:           8
        .value_kind:     by_value
      - .offset:         24
        .size:           4
        .value_kind:     by_value
      - .offset:         32
        .size:           8
        .value_kind:     by_value
      - .address_space:  global
        .offset:         40
        .size:           8
        .value_kind:     global_buffer
      - .offset:         48
        .size:           8
        .value_kind:     by_value
      - .offset:         56
        .size:           4
        .value_kind:     by_value
      - .offset:         64
        .size:           8
        .value_kind:     by_value
      - .offset:         72
        .size:           4
        .value_kind:     by_value
    .group_segment_fixed_size: 0
    .kernarg_segment_align: 8
    .kernarg_segment_size: 76
    .language:       OpenCL C
    .language_version:
      - 2
      - 0
    .max_flat_workgroup_size: 256
    .name:           _ZL19rocblas_copy_kernelIiLi256EPK19rocblas_complex_numIfEPS1_EviT1_lT_lT2_lS6_li
    .private_segment_fixed_size: 0
    .sgpr_count:     24
    .sgpr_spill_count: 0
    .symbol:         _ZL19rocblas_copy_kernelIiLi256EPK19rocblas_complex_numIfEPS1_EviT1_lT_lT2_lS6_li.kd
    .uniform_work_group_size: 1
    .uses_dynamic_stack: false
    .vgpr_count:     8
    .vgpr_spill_count: 0
    .wavefront_size: 32
  - .args:
      - .offset:         0
        .size:           4
        .value_kind:     by_value
      - .address_space:  global
        .offset:         8
        .size:           8
        .value_kind:     global_buffer
      - .offset:         16
        .size:           8
        .value_kind:     by_value
      - .offset:         24
        .size:           4
        .value_kind:     by_value
      - .offset:         32
        .size:           8
        .value_kind:     by_value
      - .address_space:  global
        .offset:         40
        .size:           8
        .value_kind:     global_buffer
      - .offset:         48
        .size:           8
        .value_kind:     by_value
      - .offset:         56
        .size:           4
        .value_kind:     by_value
      - .offset:         64
        .size:           8
        .value_kind:     by_value
      - .offset:         72
        .size:           4
        .value_kind:     by_value
    .group_segment_fixed_size: 0
    .kernarg_segment_align: 8
    .kernarg_segment_size: 76
    .language:       OpenCL C
    .language_version:
      - 2
      - 0
    .max_flat_workgroup_size: 256
    .name:           _ZL19rocblas_copy_kernelIiLi256EPK19rocblas_complex_numIdEPS1_EviT1_lT_lT2_lS6_li
    .private_segment_fixed_size: 0
    .sgpr_count:     24
    .sgpr_spill_count: 0
    .symbol:         _ZL19rocblas_copy_kernelIiLi256EPK19rocblas_complex_numIdEPS1_EviT1_lT_lT2_lS6_li.kd
    .uniform_work_group_size: 1
    .uses_dynamic_stack: false
    .vgpr_count:     10
    .vgpr_spill_count: 0
    .wavefront_size: 32
  - .args:
      - .offset:         0
        .size:           4
        .value_kind:     by_value
      - .address_space:  global
        .offset:         8
        .size:           8
        .value_kind:     global_buffer
      - .offset:         16
        .size:           8
        .value_kind:     by_value
      - .offset:         24
        .size:           4
        .value_kind:     by_value
      - .offset:         32
        .size:           8
        .value_kind:     by_value
      - .address_space:  global
        .offset:         40
        .size:           8
        .value_kind:     global_buffer
      - .offset:         48
        .size:           8
        .value_kind:     by_value
      - .offset:         56
        .size:           4
        .value_kind:     by_value
      - .offset:         64
        .size:           8
        .value_kind:     by_value
      - .offset:         72
        .size:           4
        .value_kind:     by_value
    .group_segment_fixed_size: 0
    .kernarg_segment_align: 8
    .kernarg_segment_size: 76
    .language:       OpenCL C
    .language_version:
      - 2
      - 0
    .max_flat_workgroup_size: 256
    .name:           _ZL19rocblas_copy_kernelIiLi256EPKPKfPKPfEviT1_lT_lT2_lS8_li
    .private_segment_fixed_size: 0
    .sgpr_count:     18
    .sgpr_spill_count: 0
    .symbol:         _ZL19rocblas_copy_kernelIiLi256EPKPKfPKPfEviT1_lT_lT2_lS8_li.kd
    .uniform_work_group_size: 1
    .uses_dynamic_stack: false
    .vgpr_count:     7
    .vgpr_spill_count: 0
    .wavefront_size: 32
  - .args:
      - .offset:         0
        .size:           4
        .value_kind:     by_value
      - .actual_access:  read_only
        .address_space:  global
        .offset:         8
        .size:           8
        .value_kind:     global_buffer
      - .offset:         16
        .size:           8
        .value_kind:     by_value
      - .offset:         24
        .size:           8
        .value_kind:     by_value
      - .actual_access:  read_only
        .address_space:  global
        .offset:         32
        .size:           8
        .value_kind:     global_buffer
      - .offset:         40
        .size:           8
        .value_kind:     by_value
      - .offset:         48
        .size:           8
        .value_kind:     by_value
      - .offset:         56
        .size:           4
        .value_kind:     by_value
    .group_segment_fixed_size: 0
    .kernarg_segment_align: 8
    .kernarg_segment_size: 60
    .language:       OpenCL C
    .language_version:
      - 2
      - 0
    .max_flat_workgroup_size: 256
    .name:           _ZL22rocblas_scopy_2_kernelILi256EPKPKfPKPfEviT0_llT1_lli
    .private_segment_fixed_size: 0
    .sgpr_count:     18
    .sgpr_spill_count: 0
    .symbol:         _ZL22rocblas_scopy_2_kernelILi256EPKPKfPKPfEviT0_llT1_lli.kd
    .uniform_work_group_size: 1
    .uses_dynamic_stack: false
    .vgpr_count:     7
    .vgpr_spill_count: 0
    .wavefront_size: 32
  - .args:
      - .offset:         0
        .size:           4
        .value_kind:     by_value
      - .address_space:  global
        .offset:         8
        .size:           8
        .value_kind:     global_buffer
      - .offset:         16
        .size:           8
        .value_kind:     by_value
      - .offset:         24
        .size:           4
        .value_kind:     by_value
      - .offset:         32
        .size:           8
        .value_kind:     by_value
      - .address_space:  global
        .offset:         40
        .size:           8
        .value_kind:     global_buffer
      - .offset:         48
        .size:           8
        .value_kind:     by_value
      - .offset:         56
        .size:           4
        .value_kind:     by_value
      - .offset:         64
        .size:           8
        .value_kind:     by_value
      - .offset:         72
        .size:           4
        .value_kind:     by_value
    .group_segment_fixed_size: 0
    .kernarg_segment_align: 8
    .kernarg_segment_size: 76
    .language:       OpenCL C
    .language_version:
      - 2
      - 0
    .max_flat_workgroup_size: 256
    .name:           _ZL19rocblas_copy_kernelIiLi256EPKPKdPKPdEviT1_lT_lT2_lS8_li
    .private_segment_fixed_size: 0
    .sgpr_count:     18
    .sgpr_spill_count: 0
    .symbol:         _ZL19rocblas_copy_kernelIiLi256EPKPKdPKPdEviT1_lT_lT2_lS8_li.kd
    .uniform_work_group_size: 1
    .uses_dynamic_stack: false
    .vgpr_count:     8
    .vgpr_spill_count: 0
    .wavefront_size: 32
  - .args:
      - .offset:         0
        .size:           4
        .value_kind:     by_value
      - .address_space:  global
        .offset:         8
        .size:           8
        .value_kind:     global_buffer
      - .offset:         16
        .size:           8
        .value_kind:     by_value
      - .offset:         24
        .size:           4
        .value_kind:     by_value
      - .offset:         32
        .size:           8
        .value_kind:     by_value
      - .address_space:  global
        .offset:         40
        .size:           8
        .value_kind:     global_buffer
      - .offset:         48
        .size:           8
        .value_kind:     by_value
      - .offset:         56
        .size:           4
        .value_kind:     by_value
      - .offset:         64
        .size:           8
        .value_kind:     by_value
      - .offset:         72
        .size:           4
        .value_kind:     by_value
    .group_segment_fixed_size: 0
    .kernarg_segment_align: 8
    .kernarg_segment_size: 76
    .language:       OpenCL C
    .language_version:
      - 2
      - 0
    .max_flat_workgroup_size: 256
    .name:           _ZL19rocblas_copy_kernelIiLi256EPKPKDF16_PKPDF16_EviT1_lT_lT2_lS8_li
    .private_segment_fixed_size: 0
    .sgpr_count:     18
    .sgpr_spill_count: 0
    .symbol:         _ZL19rocblas_copy_kernelIiLi256EPKPKDF16_PKPDF16_EviT1_lT_lT2_lS8_li.kd
    .uniform_work_group_size: 1
    .uses_dynamic_stack: false
    .vgpr_count:     7
    .vgpr_spill_count: 0
    .wavefront_size: 32
  - .args:
      - .offset:         0
        .size:           4
        .value_kind:     by_value
      - .address_space:  global
        .offset:         8
        .size:           8
        .value_kind:     global_buffer
      - .offset:         16
        .size:           8
        .value_kind:     by_value
      - .offset:         24
        .size:           4
        .value_kind:     by_value
      - .offset:         32
        .size:           8
        .value_kind:     by_value
      - .address_space:  global
        .offset:         40
        .size:           8
        .value_kind:     global_buffer
      - .offset:         48
        .size:           8
        .value_kind:     by_value
      - .offset:         56
        .size:           4
        .value_kind:     by_value
      - .offset:         64
        .size:           8
        .value_kind:     by_value
      - .offset:         72
        .size:           4
        .value_kind:     by_value
    .group_segment_fixed_size: 0
    .kernarg_segment_align: 8
    .kernarg_segment_size: 76
    .language:       OpenCL C
    .language_version:
      - 2
      - 0
    .max_flat_workgroup_size: 256
    .name:           _ZL19rocblas_copy_kernelIiLi256EPKPK19rocblas_complex_numIfEPKPS1_EviT1_lT_lT2_lSA_li
    .private_segment_fixed_size: 0
    .sgpr_count:     18
    .sgpr_spill_count: 0
    .symbol:         _ZL19rocblas_copy_kernelIiLi256EPKPK19rocblas_complex_numIfEPKPS1_EviT1_lT_lT2_lSA_li.kd
    .uniform_work_group_size: 1
    .uses_dynamic_stack: false
    .vgpr_count:     9
    .vgpr_spill_count: 0
    .wavefront_size: 32
  - .args:
      - .offset:         0
        .size:           4
        .value_kind:     by_value
      - .address_space:  global
        .offset:         8
        .size:           8
        .value_kind:     global_buffer
      - .offset:         16
        .size:           8
        .value_kind:     by_value
      - .offset:         24
        .size:           4
        .value_kind:     by_value
      - .offset:         32
        .size:           8
        .value_kind:     by_value
      - .address_space:  global
        .offset:         40
        .size:           8
        .value_kind:     global_buffer
      - .offset:         48
        .size:           8
        .value_kind:     by_value
      - .offset:         56
        .size:           4
        .value_kind:     by_value
      - .offset:         64
        .size:           8
        .value_kind:     by_value
      - .offset:         72
        .size:           4
        .value_kind:     by_value
    .group_segment_fixed_size: 0
    .kernarg_segment_align: 8
    .kernarg_segment_size: 76
    .language:       OpenCL C
    .language_version:
      - 2
      - 0
    .max_flat_workgroup_size: 256
    .name:           _ZL19rocblas_copy_kernelIiLi256EPKPK19rocblas_complex_numIdEPKPS1_EviT1_lT_lT2_lSA_li
    .private_segment_fixed_size: 0
    .sgpr_count:     18
    .sgpr_spill_count: 0
    .symbol:         _ZL19rocblas_copy_kernelIiLi256EPKPK19rocblas_complex_numIdEPKPS1_EviT1_lT_lT2_lSA_li.kd
    .uniform_work_group_size: 1
    .uses_dynamic_stack: false
    .vgpr_count:     10
    .vgpr_spill_count: 0
    .wavefront_size: 32
  - .args:
      - .offset:         0
        .size:           4
        .value_kind:     by_value
      - .address_space:  global
        .offset:         8
        .size:           8
        .value_kind:     global_buffer
      - .offset:         16
        .size:           8
        .value_kind:     by_value
      - .offset:         24
        .size:           4
        .value_kind:     by_value
      - .offset:         32
        .size:           8
        .value_kind:     by_value
      - .address_space:  global
        .offset:         40
        .size:           8
        .value_kind:     global_buffer
      - .offset:         48
        .size:           8
        .value_kind:     by_value
      - .offset:         56
        .size:           4
        .value_kind:     by_value
      - .offset:         64
        .size:           8
        .value_kind:     by_value
      - .offset:         72
        .size:           4
        .value_kind:     by_value
    .group_segment_fixed_size: 0
    .kernarg_segment_align: 8
    .kernarg_segment_size: 76
    .language:       OpenCL C
    .language_version:
      - 2
      - 0
    .max_flat_workgroup_size: 256
    .name:           _ZL19rocblas_copy_kernelIiLi256EPfPKS0_EviT1_lT_lT2_lS4_li
    .private_segment_fixed_size: 0
    .sgpr_count:     21
    .sgpr_spill_count: 0
    .symbol:         _ZL19rocblas_copy_kernelIiLi256EPfPKS0_EviT1_lT_lT2_lS4_li.kd
    .uniform_work_group_size: 1
    .uses_dynamic_stack: false
    .vgpr_count:     7
    .vgpr_spill_count: 0
    .wavefront_size: 32
  - .args:
      - .offset:         0
        .size:           4
        .value_kind:     by_value
      - .actual_access:  read_only
        .address_space:  global
        .offset:         8
        .size:           8
        .value_kind:     global_buffer
      - .offset:         16
        .size:           8
        .value_kind:     by_value
      - .offset:         24
        .size:           8
        .value_kind:     by_value
      - .actual_access:  read_only
        .address_space:  global
        .offset:         32
        .size:           8
        .value_kind:     global_buffer
      - .offset:         40
        .size:           8
        .value_kind:     by_value
      - .offset:         48
        .size:           8
        .value_kind:     by_value
      - .offset:         56
        .size:           4
        .value_kind:     by_value
    .group_segment_fixed_size: 0
    .kernarg_segment_align: 8
    .kernarg_segment_size: 60
    .language:       OpenCL C
    .language_version:
      - 2
      - 0
    .max_flat_workgroup_size: 256
    .name:           _ZL22rocblas_scopy_2_kernelILi256EPfPKS0_EviT0_llT1_lli
    .private_segment_fixed_size: 0
    .sgpr_count:     21
    .sgpr_spill_count: 0
    .symbol:         _ZL22rocblas_scopy_2_kernelILi256EPfPKS0_EviT0_llT1_lli.kd
    .uniform_work_group_size: 1
    .uses_dynamic_stack: false
    .vgpr_count:     8
    .vgpr_spill_count: 0
    .wavefront_size: 32
  - .args:
      - .offset:         0
        .size:           4
        .value_kind:     by_value
      - .address_space:  global
        .offset:         8
        .size:           8
        .value_kind:     global_buffer
      - .offset:         16
        .size:           8
        .value_kind:     by_value
      - .offset:         24
        .size:           4
        .value_kind:     by_value
      - .offset:         32
        .size:           8
        .value_kind:     by_value
      - .address_space:  global
        .offset:         40
        .size:           8
        .value_kind:     global_buffer
      - .offset:         48
        .size:           8
        .value_kind:     by_value
      - .offset:         56
        .size:           4
        .value_kind:     by_value
      - .offset:         64
        .size:           8
        .value_kind:     by_value
      - .offset:         72
        .size:           4
        .value_kind:     by_value
    .group_segment_fixed_size: 0
    .kernarg_segment_align: 8
    .kernarg_segment_size: 76
    .language:       OpenCL C
    .language_version:
      - 2
      - 0
    .max_flat_workgroup_size: 256
    .name:           _ZL19rocblas_copy_kernelIiLi256EPdPKS0_EviT1_lT_lT2_lS4_li
    .private_segment_fixed_size: 0
    .sgpr_count:     21
    .sgpr_spill_count: 0
    .symbol:         _ZL19rocblas_copy_kernelIiLi256EPdPKS0_EviT1_lT_lT2_lS4_li.kd
    .uniform_work_group_size: 1
    .uses_dynamic_stack: false
    .vgpr_count:     8
    .vgpr_spill_count: 0
    .wavefront_size: 32
  - .args:
      - .offset:         0
        .size:           4
        .value_kind:     by_value
      - .address_space:  global
        .offset:         8
        .size:           8
        .value_kind:     global_buffer
      - .offset:         16
        .size:           8
        .value_kind:     by_value
      - .offset:         24
        .size:           4
        .value_kind:     by_value
      - .offset:         32
        .size:           8
        .value_kind:     by_value
      - .address_space:  global
        .offset:         40
        .size:           8
        .value_kind:     global_buffer
      - .offset:         48
        .size:           8
        .value_kind:     by_value
      - .offset:         56
        .size:           4
        .value_kind:     by_value
      - .offset:         64
        .size:           8
        .value_kind:     by_value
      - .offset:         72
        .size:           4
        .value_kind:     by_value
    .group_segment_fixed_size: 0
    .kernarg_segment_align: 8
    .kernarg_segment_size: 76
    .language:       OpenCL C
    .language_version:
      - 2
      - 0
    .max_flat_workgroup_size: 256
    .name:           _ZL19rocblas_copy_kernelIiLi256EP19rocblas_complex_numIfEPKS2_EviT1_lT_lT2_lS6_li
    .private_segment_fixed_size: 0
    .sgpr_count:     21
    .sgpr_spill_count: 0
    .symbol:         _ZL19rocblas_copy_kernelIiLi256EP19rocblas_complex_numIfEPKS2_EviT1_lT_lT2_lS6_li.kd
    .uniform_work_group_size: 1
    .uses_dynamic_stack: false
    .vgpr_count:     8
    .vgpr_spill_count: 0
    .wavefront_size: 32
  - .args:
      - .offset:         0
        .size:           4
        .value_kind:     by_value
      - .address_space:  global
        .offset:         8
        .size:           8
        .value_kind:     global_buffer
      - .offset:         16
        .size:           8
        .value_kind:     by_value
      - .offset:         24
        .size:           4
        .value_kind:     by_value
      - .offset:         32
        .size:           8
        .value_kind:     by_value
      - .address_space:  global
        .offset:         40
        .size:           8
        .value_kind:     global_buffer
      - .offset:         48
        .size:           8
        .value_kind:     by_value
      - .offset:         56
        .size:           4
        .value_kind:     by_value
      - .offset:         64
        .size:           8
        .value_kind:     by_value
      - .offset:         72
        .size:           4
        .value_kind:     by_value
    .group_segment_fixed_size: 0
    .kernarg_segment_align: 8
    .kernarg_segment_size: 76
    .language:       OpenCL C
    .language_version:
      - 2
      - 0
    .max_flat_workgroup_size: 256
    .name:           _ZL19rocblas_copy_kernelIiLi256EP19rocblas_complex_numIdEPKS2_EviT1_lT_lT2_lS6_li
    .private_segment_fixed_size: 0
    .sgpr_count:     21
    .sgpr_spill_count: 0
    .symbol:         _ZL19rocblas_copy_kernelIiLi256EP19rocblas_complex_numIdEPKS2_EviT1_lT_lT2_lS6_li.kd
    .uniform_work_group_size: 1
    .uses_dynamic_stack: false
    .vgpr_count:     10
    .vgpr_spill_count: 0
    .wavefront_size: 32
  - .args:
      - .offset:         0
        .size:           4
        .value_kind:     by_value
      - .address_space:  global
        .offset:         8
        .size:           8
        .value_kind:     global_buffer
      - .offset:         16
        .size:           8
        .value_kind:     by_value
      - .offset:         24
        .size:           8
        .value_kind:     by_value
      - .offset:         32
        .size:           8
        .value_kind:     by_value
      - .address_space:  global
        .offset:         40
        .size:           8
        .value_kind:     global_buffer
      - .offset:         48
        .size:           8
        .value_kind:     by_value
      - .offset:         56
        .size:           8
        .value_kind:     by_value
      - .offset:         64
        .size:           8
        .value_kind:     by_value
      - .offset:         72
        .size:           4
        .value_kind:     by_value
    .group_segment_fixed_size: 0
    .kernarg_segment_align: 8
    .kernarg_segment_size: 76
    .language:       OpenCL C
    .language_version:
      - 2
      - 0
    .max_flat_workgroup_size: 256
    .name:           _ZL19rocblas_copy_kernelIlLi256EPfS0_EviT1_lT_lT2_lS2_li
    .private_segment_fixed_size: 0
    .sgpr_count:     27
    .sgpr_spill_count: 0
    .symbol:         _ZL19rocblas_copy_kernelIlLi256EPfS0_EviT1_lT_lT2_lS2_li.kd
    .uniform_work_group_size: 1
    .uses_dynamic_stack: false
    .vgpr_count:     7
    .vgpr_spill_count: 0
    .wavefront_size: 32
  - .args:
      - .offset:         0
        .size:           4
        .value_kind:     by_value
      - .actual_access:  read_only
        .address_space:  global
        .offset:         8
        .size:           8
        .value_kind:     global_buffer
      - .offset:         16
        .size:           8
        .value_kind:     by_value
      - .offset:         24
        .size:           8
        .value_kind:     by_value
      - .actual_access:  write_only
        .address_space:  global
        .offset:         32
        .size:           8
        .value_kind:     global_buffer
      - .offset:         40
        .size:           8
        .value_kind:     by_value
      - .offset:         48
        .size:           8
        .value_kind:     by_value
      - .offset:         56
        .size:           4
        .value_kind:     by_value
    .group_segment_fixed_size: 0
    .kernarg_segment_align: 8
    .kernarg_segment_size: 60
    .language:       OpenCL C
    .language_version:
      - 2
      - 0
    .max_flat_workgroup_size: 256
    .name:           _ZL22rocblas_scopy_2_kernelILi256EPfS0_EviT0_llT1_lli
    .private_segment_fixed_size: 0
    .sgpr_count:     23
    .sgpr_spill_count: 0
    .symbol:         _ZL22rocblas_scopy_2_kernelILi256EPfS0_EviT0_llT1_lli.kd
    .uniform_work_group_size: 1
    .uses_dynamic_stack: false
    .vgpr_count:     8
    .vgpr_spill_count: 0
    .wavefront_size: 32
  - .args:
      - .offset:         0
        .size:           4
        .value_kind:     by_value
      - .address_space:  global
        .offset:         8
        .size:           8
        .value_kind:     global_buffer
      - .offset:         16
        .size:           8
        .value_kind:     by_value
      - .offset:         24
        .size:           8
        .value_kind:     by_value
      - .offset:         32
        .size:           8
        .value_kind:     by_value
      - .address_space:  global
        .offset:         40
        .size:           8
        .value_kind:     global_buffer
      - .offset:         48
        .size:           8
        .value_kind:     by_value
      - .offset:         56
        .size:           8
        .value_kind:     by_value
      - .offset:         64
        .size:           8
        .value_kind:     by_value
      - .offset:         72
        .size:           4
        .value_kind:     by_value
    .group_segment_fixed_size: 0
    .kernarg_segment_align: 8
    .kernarg_segment_size: 76
    .language:       OpenCL C
    .language_version:
      - 2
      - 0
    .max_flat_workgroup_size: 256
    .name:           _ZL19rocblas_copy_kernelIlLi256EPdS0_EviT1_lT_lT2_lS2_li
    .private_segment_fixed_size: 0
    .sgpr_count:     27
    .sgpr_spill_count: 0
    .symbol:         _ZL19rocblas_copy_kernelIlLi256EPdS0_EviT1_lT_lT2_lS2_li.kd
    .uniform_work_group_size: 1
    .uses_dynamic_stack: false
    .vgpr_count:     8
    .vgpr_spill_count: 0
    .wavefront_size: 32
  - .args:
      - .offset:         0
        .size:           4
        .value_kind:     by_value
      - .address_space:  global
        .offset:         8
        .size:           8
        .value_kind:     global_buffer
      - .offset:         16
        .size:           8
        .value_kind:     by_value
      - .offset:         24
        .size:           8
        .value_kind:     by_value
      - .offset:         32
        .size:           8
        .value_kind:     by_value
      - .address_space:  global
        .offset:         40
        .size:           8
        .value_kind:     global_buffer
      - .offset:         48
        .size:           8
        .value_kind:     by_value
      - .offset:         56
        .size:           8
        .value_kind:     by_value
      - .offset:         64
        .size:           8
        .value_kind:     by_value
      - .offset:         72
        .size:           4
        .value_kind:     by_value
    .group_segment_fixed_size: 0
    .kernarg_segment_align: 8
    .kernarg_segment_size: 76
    .language:       OpenCL C
    .language_version:
      - 2
      - 0
    .max_flat_workgroup_size: 256
    .name:           _ZL19rocblas_copy_kernelIlLi256EP19rocblas_complex_numIfES2_EviT1_lT_lT2_lS4_li
    .private_segment_fixed_size: 0
    .sgpr_count:     27
    .sgpr_spill_count: 0
    .symbol:         _ZL19rocblas_copy_kernelIlLi256EP19rocblas_complex_numIfES2_EviT1_lT_lT2_lS4_li.kd
    .uniform_work_group_size: 1
    .uses_dynamic_stack: false
    .vgpr_count:     8
    .vgpr_spill_count: 0
    .wavefront_size: 32
  - .args:
      - .offset:         0
        .size:           4
        .value_kind:     by_value
      - .address_space:  global
        .offset:         8
        .size:           8
        .value_kind:     global_buffer
      - .offset:         16
        .size:           8
        .value_kind:     by_value
      - .offset:         24
        .size:           8
        .value_kind:     by_value
      - .offset:         32
        .size:           8
        .value_kind:     by_value
      - .address_space:  global
        .offset:         40
        .size:           8
        .value_kind:     global_buffer
      - .offset:         48
        .size:           8
        .value_kind:     by_value
      - .offset:         56
        .size:           8
        .value_kind:     by_value
      - .offset:         64
        .size:           8
        .value_kind:     by_value
      - .offset:         72
        .size:           4
        .value_kind:     by_value
    .group_segment_fixed_size: 0
    .kernarg_segment_align: 8
    .kernarg_segment_size: 76
    .language:       OpenCL C
    .language_version:
      - 2
      - 0
    .max_flat_workgroup_size: 256
    .name:           _ZL19rocblas_copy_kernelIlLi256EP19rocblas_complex_numIdES2_EviT1_lT_lT2_lS4_li
    .private_segment_fixed_size: 0
    .sgpr_count:     27
    .sgpr_spill_count: 0
    .symbol:         _ZL19rocblas_copy_kernelIlLi256EP19rocblas_complex_numIdES2_EviT1_lT_lT2_lS4_li.kd
    .uniform_work_group_size: 1
    .uses_dynamic_stack: false
    .vgpr_count:     10
    .vgpr_spill_count: 0
    .wavefront_size: 32
  - .args:
      - .offset:         0
        .size:           4
        .value_kind:     by_value
      - .address_space:  global
        .offset:         8
        .size:           8
        .value_kind:     global_buffer
      - .offset:         16
        .size:           8
        .value_kind:     by_value
      - .offset:         24
        .size:           8
        .value_kind:     by_value
      - .offset:         32
        .size:           8
        .value_kind:     by_value
      - .address_space:  global
        .offset:         40
        .size:           8
        .value_kind:     global_buffer
      - .offset:         48
        .size:           8
        .value_kind:     by_value
      - .offset:         56
        .size:           8
        .value_kind:     by_value
      - .offset:         64
        .size:           8
        .value_kind:     by_value
      - .offset:         72
        .size:           4
        .value_kind:     by_value
    .group_segment_fixed_size: 0
    .kernarg_segment_align: 8
    .kernarg_segment_size: 76
    .language:       OpenCL C
    .language_version:
      - 2
      - 0
    .max_flat_workgroup_size: 256
    .name:           _ZL19rocblas_copy_kernelIlLi256EPfPKS0_EviT1_lT_lT2_lS4_li
    .private_segment_fixed_size: 0
    .sgpr_count:     22
    .sgpr_spill_count: 0
    .symbol:         _ZL19rocblas_copy_kernelIlLi256EPfPKS0_EviT1_lT_lT2_lS4_li.kd
    .uniform_work_group_size: 1
    .uses_dynamic_stack: false
    .vgpr_count:     7
    .vgpr_spill_count: 0
    .wavefront_size: 32
  - .args:
      - .offset:         0
        .size:           4
        .value_kind:     by_value
      - .address_space:  global
        .offset:         8
        .size:           8
        .value_kind:     global_buffer
      - .offset:         16
        .size:           8
        .value_kind:     by_value
      - .offset:         24
        .size:           8
        .value_kind:     by_value
      - .offset:         32
        .size:           8
        .value_kind:     by_value
      - .address_space:  global
        .offset:         40
        .size:           8
        .value_kind:     global_buffer
      - .offset:         48
        .size:           8
        .value_kind:     by_value
      - .offset:         56
        .size:           8
        .value_kind:     by_value
      - .offset:         64
        .size:           8
        .value_kind:     by_value
      - .offset:         72
        .size:           4
        .value_kind:     by_value
    .group_segment_fixed_size: 0
    .kernarg_segment_align: 8
    .kernarg_segment_size: 76
    .language:       OpenCL C
    .language_version:
      - 2
      - 0
    .max_flat_workgroup_size: 256
    .name:           _ZL19rocblas_copy_kernelIlLi256EPdPKS0_EviT1_lT_lT2_lS4_li
    .private_segment_fixed_size: 0
    .sgpr_count:     22
    .sgpr_spill_count: 0
    .symbol:         _ZL19rocblas_copy_kernelIlLi256EPdPKS0_EviT1_lT_lT2_lS4_li.kd
    .uniform_work_group_size: 1
    .uses_dynamic_stack: false
    .vgpr_count:     8
    .vgpr_spill_count: 0
    .wavefront_size: 32
  - .args:
      - .offset:         0
        .size:           4
        .value_kind:     by_value
      - .address_space:  global
        .offset:         8
        .size:           8
        .value_kind:     global_buffer
      - .offset:         16
        .size:           8
        .value_kind:     by_value
      - .offset:         24
        .size:           8
        .value_kind:     by_value
      - .offset:         32
        .size:           8
        .value_kind:     by_value
      - .address_space:  global
        .offset:         40
        .size:           8
        .value_kind:     global_buffer
      - .offset:         48
        .size:           8
        .value_kind:     by_value
      - .offset:         56
        .size:           8
        .value_kind:     by_value
      - .offset:         64
        .size:           8
        .value_kind:     by_value
      - .offset:         72
        .size:           4
        .value_kind:     by_value
    .group_segment_fixed_size: 0
    .kernarg_segment_align: 8
    .kernarg_segment_size: 76
    .language:       OpenCL C
    .language_version:
      - 2
      - 0
    .max_flat_workgroup_size: 256
    .name:           _ZL19rocblas_copy_kernelIlLi256EP19rocblas_complex_numIfEPKS2_EviT1_lT_lT2_lS6_li
    .private_segment_fixed_size: 0
    .sgpr_count:     22
    .sgpr_spill_count: 0
    .symbol:         _ZL19rocblas_copy_kernelIlLi256EP19rocblas_complex_numIfEPKS2_EviT1_lT_lT2_lS6_li.kd
    .uniform_work_group_size: 1
    .uses_dynamic_stack: false
    .vgpr_count:     8
    .vgpr_spill_count: 0
    .wavefront_size: 32
  - .args:
      - .offset:         0
        .size:           4
        .value_kind:     by_value
      - .address_space:  global
        .offset:         8
        .size:           8
        .value_kind:     global_buffer
      - .offset:         16
        .size:           8
        .value_kind:     by_value
      - .offset:         24
        .size:           8
        .value_kind:     by_value
      - .offset:         32
        .size:           8
        .value_kind:     by_value
      - .address_space:  global
        .offset:         40
        .size:           8
        .value_kind:     global_buffer
      - .offset:         48
        .size:           8
        .value_kind:     by_value
      - .offset:         56
        .size:           8
        .value_kind:     by_value
      - .offset:         64
        .size:           8
        .value_kind:     by_value
      - .offset:         72
        .size:           4
        .value_kind:     by_value
    .group_segment_fixed_size: 0
    .kernarg_segment_align: 8
    .kernarg_segment_size: 76
    .language:       OpenCL C
    .language_version:
      - 2
      - 0
    .max_flat_workgroup_size: 256
    .name:           _ZL19rocblas_copy_kernelIlLi256EP19rocblas_complex_numIdEPKS2_EviT1_lT_lT2_lS6_li
    .private_segment_fixed_size: 0
    .sgpr_count:     22
    .sgpr_spill_count: 0
    .symbol:         _ZL19rocblas_copy_kernelIlLi256EP19rocblas_complex_numIdEPKS2_EviT1_lT_lT2_lS6_li.kd
    .uniform_work_group_size: 1
    .uses_dynamic_stack: false
    .vgpr_count:     10
    .vgpr_spill_count: 0
    .wavefront_size: 32
amdhsa.target:   amdgcn-amd-amdhsa--gfx1250
amdhsa.version:
  - 1
  - 2
...

	.end_amdgpu_metadata
